;; amdgpu-corpus repo=ROCm/rocFFT kind=compiled arch=gfx1030 opt=O3
	.text
	.amdgcn_target "amdgcn-amd-amdhsa--gfx1030"
	.amdhsa_code_object_version 6
	.protected	bluestein_single_fwd_len1170_dim1_sp_op_CI_CI ; -- Begin function bluestein_single_fwd_len1170_dim1_sp_op_CI_CI
	.globl	bluestein_single_fwd_len1170_dim1_sp_op_CI_CI
	.p2align	8
	.type	bluestein_single_fwd_len1170_dim1_sp_op_CI_CI,@function
bluestein_single_fwd_len1170_dim1_sp_op_CI_CI: ; @bluestein_single_fwd_len1170_dim1_sp_op_CI_CI
; %bb.0:
	s_load_dwordx4 s[12:15], s[4:5], 0x28
	v_mul_u32_u24_e32 v1, 0x231, v0
	v_mov_b32_e32 v97, 0
	s_mov_b32 s0, exec_lo
	v_lshrrev_b32_e32 v1, 16, v1
	v_add_nc_u32_e32 v96, s6, v1
	s_waitcnt lgkmcnt(0)
	v_cmpx_gt_u64_e64 s[12:13], v[96:97]
	s_cbranch_execz .LBB0_26
; %bb.1:
	s_clause 0x1
	s_load_dwordx4 s[0:3], s[4:5], 0x18
	s_load_dwordx4 s[8:11], s[4:5], 0x0
	v_mul_lo_u16 v1, 0x75, v1
                                        ; implicit-def: $vgpr44
                                        ; implicit-def: $vgpr48
	v_sub_nc_u16 v25, v0, v1
	v_and_b32_e32 v119, 0xffff, v25
	v_lshlrev_b32_e32 v120, 3, v119
	v_lshlrev_b32_e32 v126, 4, v119
	s_waitcnt lgkmcnt(0)
	s_load_dwordx4 s[16:19], s[0:1], 0x0
	s_clause 0x2
	global_load_dwordx2 v[97:98], v120, s[8:9]
	global_load_dwordx2 v[99:100], v120, s[8:9] offset:936
	global_load_dwordx2 v[101:102], v120, s[8:9] offset:1872
	v_add_co_u32 v12, s0, s8, v120
	v_add_co_ci_u32_e64 v13, null, s9, 0, s0
	v_add_nc_u32_e32 v26, 0xc00, v120
	v_add_co_u32 v2, vcc_lo, 0x1000, v12
	v_add_co_ci_u32_e32 v3, vcc_lo, 0, v13, vcc_lo
	v_add_co_u32 v6, vcc_lo, 0x1800, v12
	v_add_co_ci_u32_e32 v7, vcc_lo, 0, v13, vcc_lo
	;; [unrolled: 2-line block ×3, first 2 shown]
	s_waitcnt lgkmcnt(0)
	v_mad_u64_u32 v[0:1], null, s18, v96, 0
	v_mad_u64_u32 v[4:5], null, s16, v119, 0
	s_clause 0x2
	global_load_dwordx2 v[115:116], v[2:3], off offset:584
	global_load_dwordx2 v[111:112], v[2:3], off offset:1520
	;; [unrolled: 1-line block ×3, first 2 shown]
	s_mul_i32 s0, s17, 0x1248
	s_mul_hi_u32 s1, s16, 0x1248
	s_mul_i32 s6, s16, 0x1248
	v_mad_u64_u32 v[10:11], null, s19, v96, v[1:2]
	v_add_co_u32 v11, vcc_lo, 0x2000, v12
	v_add_co_ci_u32_e32 v12, vcc_lo, 0, v13, vcc_lo
	v_mad_u64_u32 v[13:14], null, s17, v119, v[5:6]
	v_mov_b32_e32 v1, v10
	s_add_i32 s1, s1, s0
	s_mul_hi_u32 s12, s16, 0xfffff160
	s_mul_i32 s7, s17, 0xfffff160
	s_mul_i32 s13, s16, 0xfffff160
	v_lshlrev_b64 v[0:1], 3, v[0:1]
	v_mov_b32_e32 v5, v13
	s_sub_i32 s0, s12, s16
	s_clause 0x1
	global_load_dwordx2 v[113:114], v[6:7], off offset:408
	global_load_dwordx2 v[103:104], v[6:7], off offset:1344
	s_add_i32 s0, s0, s7
	v_lshlrev_b64 v[2:3], 3, v[4:5]
	v_add_co_u32 v0, vcc_lo, s14, v0
	v_add_co_ci_u32_e32 v1, vcc_lo, s15, v1, vcc_lo
	v_add_co_u32 v0, vcc_lo, v0, v2
	v_add_co_ci_u32_e32 v1, vcc_lo, v1, v3, vcc_lo
	;; [unrolled: 2-line block ×4, first 2 shown]
	s_clause 0x1
	global_load_dwordx2 v[13:14], v[0:1], off
	global_load_dwordx2 v[2:3], v[2:3], off
	v_add_co_u32 v6, vcc_lo, v4, s6
	v_add_co_ci_u32_e32 v7, vcc_lo, s1, v5, vcc_lo
	global_load_dwordx2 v[4:5], v[4:5], off
	v_add_co_u32 v0, vcc_lo, v6, s13
	v_add_co_ci_u32_e32 v1, vcc_lo, s0, v7, vcc_lo
	s_clause 0x1
	global_load_dwordx2 v[6:7], v[6:7], off
	global_load_dwordx2 v[17:18], v[0:1], off
	v_add_co_u32 v15, vcc_lo, v0, s6
	v_add_co_ci_u32_e32 v16, vcc_lo, s1, v1, vcc_lo
	v_add_co_u32 v0, vcc_lo, v15, s13
	v_add_co_ci_u32_e32 v1, vcc_lo, s0, v16, vcc_lo
	global_load_dwordx2 v[15:16], v[15:16], off
	v_add_co_u32 v19, vcc_lo, v0, s6
	v_add_co_ci_u32_e32 v20, vcc_lo, s1, v1, vcc_lo
	global_load_dwordx2 v[21:22], v[0:1], off
	;; [unrolled: 3-line block ×3, first 2 shown]
	v_add_co_u32 v23, vcc_lo, v0, s6
	v_add_co_ci_u32_e32 v24, vcc_lo, s1, v1, vcc_lo
	global_load_dwordx2 v[105:106], v[8:9], off offset:1696
	global_load_dwordx2 v[8:9], v[0:1], off
	global_load_dwordx2 v[107:108], v[11:12], off offset:232
	global_load_dwordx2 v[10:11], v[23:24], off
	v_add_nc_u32_e32 v1, 0x400, v120
	v_cmp_gt_u16_e64 s0, 0x5a, v25
	v_add_nc_u32_e32 v0, 0x1400, v120
	v_add_nc_u32_e32 v25, 0x1c00, v120
	v_add_co_u32 v64, s1, 0x75, v119
	s_load_dwordx2 s[12:13], s[4:5], 0x38
	s_load_dwordx4 s[4:7], s[2:3], 0x0
	v_lshlrev_b32_e32 v124, 4, v64
	s_waitcnt vmcnt(11)
	v_mul_f32_e32 v12, v14, v98
	s_waitcnt vmcnt(10)
	v_mul_f32_e32 v23, v3, v116
	v_mul_f32_e32 v24, v2, v116
	v_mul_f32_e32 v27, v13, v98
	v_fmac_f32_e32 v12, v13, v97
	v_fmac_f32_e32 v23, v2, v115
	v_fma_f32 v24, v3, v115, -v24
	s_waitcnt vmcnt(9)
	v_mul_f32_e32 v2, v5, v100
	v_fma_f32 v13, v14, v97, -v27
	v_mul_f32_e32 v3, v4, v100
	ds_write_b64 v120, v[23:24] offset:4680
	v_fmac_f32_e32 v2, v4, v99
	s_waitcnt vmcnt(8)
	v_mul_f32_e32 v4, v7, v112
	v_mul_f32_e32 v14, v6, v112
	s_waitcnt vmcnt(7)
	v_mul_f32_e32 v23, v18, v102
	v_mul_f32_e32 v24, v17, v102
	v_fma_f32 v3, v5, v99, -v3
	v_fmac_f32_e32 v4, v6, v111
	v_fma_f32 v5, v7, v111, -v14
	v_fmac_f32_e32 v23, v17, v101
	v_fma_f32 v24, v18, v101, -v24
	s_waitcnt vmcnt(6)
	v_mul_f32_e32 v6, v16, v114
	v_mul_f32_e32 v7, v15, v114
	s_waitcnt vmcnt(5)
	v_mul_f32_e32 v18, v21, v110
	v_mul_f32_e32 v14, v22, v110
	v_fmac_f32_e32 v6, v15, v113
	v_fma_f32 v7, v16, v113, -v7
	s_waitcnt vmcnt(4)
	v_mul_f32_e32 v17, v20, v104
	v_fma_f32 v15, v22, v109, -v18
	v_mul_f32_e32 v16, v19, v104
	s_waitcnt vmcnt(2)
	v_mul_f32_e32 v22, v8, v106
	v_fmac_f32_e32 v14, v21, v109
	v_fmac_f32_e32 v17, v19, v103
	v_mul_f32_e32 v19, v9, v106
	s_waitcnt vmcnt(0)
	v_mul_f32_e32 v21, v11, v108
	v_mul_f32_e32 v27, v10, v108
	v_fma_f32 v18, v20, v103, -v16
	v_fma_f32 v20, v9, v105, -v22
	v_fmac_f32_e32 v19, v8, v105
	v_fmac_f32_e32 v21, v10, v107
	v_fma_f32 v22, v11, v107, -v27
	v_add_co_ci_u32_e64 v10, null, 0, 0, s1
	ds_write2_b64 v120, v[12:13], v[2:3] offset1:117
	ds_write2_b64 v0, v[4:5], v[6:7] offset0:62 offset1:179
	ds_write2_b64 v1, v[23:24], v[14:15] offset0:106 offset1:223
	ds_write_b64 v120, v[19:20] offset:3744
	ds_write2_b64 v25, v[17:18], v[21:22] offset0:40 offset1:157
	s_waitcnt lgkmcnt(0)
	s_barrier
	buffer_gl0_inv
	ds_read2_b64 v[2:5], v120 offset1:117
	ds_read2_b64 v[6:9], v0 offset0:62 offset1:179
	ds_read2_b64 v[10:13], v1 offset0:106 offset1:223
	;; [unrolled: 1-line block ×4, first 2 shown]
	v_add_co_u32 v65, s1, 0xea, v119
	v_add_co_ci_u32_e64 v22, null, 0, 0, s1
	v_add_co_u32 v133, s1, 0x15f, v119
	v_add_co_ci_u32_e64 v134, null, 0, 0, s1
	v_lshlrev_b32_e32 v125, 4, v65
	v_lshlrev_b32_e32 v123, 4, v133
	s_waitcnt lgkmcnt(0)
	s_barrier
	buffer_gl0_inv
	v_sub_f32_e32 v42, v4, v6
	v_sub_f32_e32 v43, v5, v7
	;; [unrolled: 1-line block ×10, first 2 shown]
	v_fma_f32 v24, v2, 2.0, -v26
	v_fma_f32 v25, v3, 2.0, -v27
	;; [unrolled: 1-line block ×10, first 2 shown]
	ds_write_b128 v126, v[24:27]
	ds_write_b128 v124, v[40:43]
	;; [unrolled: 1-line block ×4, first 2 shown]
	ds_write_b128 v126, v[32:35] offset:7488
	s_waitcnt lgkmcnt(0)
	s_barrier
	buffer_gl0_inv
	s_and_saveexec_b32 s1, s0
	s_cbranch_execz .LBB0_3
; %bb.2:
	v_add_nc_u32_e32 v2, 0x800, v120
	v_add_nc_u32_e32 v3, 0x1000, v120
	;; [unrolled: 1-line block ×3, first 2 shown]
	ds_read2_b64 v[24:27], v120 offset1:90
	ds_read2_b64 v[40:43], v1 offset0:52 offset1:142
	ds_read2_b64 v[36:39], v2 offset0:104 offset1:194
	;; [unrolled: 1-line block ×5, first 2 shown]
	ds_read_b64 v[48:49], v120 offset:8640
.LBB0_3:
	s_or_b32 exec_lo, exec_lo, s1
	v_and_b32_e32 v121, 1, v119
	v_mul_u32_u24_e32 v0, 12, v121
	v_lshlrev_b32_e32 v4, 3, v0
	s_clause 0x5
	global_load_dwordx4 v[20:23], v4, s[10:11]
	global_load_dwordx4 v[16:19], v4, s[10:11] offset:16
	global_load_dwordx4 v[12:15], v4, s[10:11] offset:32
	;; [unrolled: 1-line block ×5, first 2 shown]
	s_waitcnt vmcnt(0) lgkmcnt(0)
	s_barrier
	buffer_gl0_inv
	v_mul_f32_e32 v56, v27, v21
	v_mul_f32_e32 v69, v26, v21
	v_mul_f32_e32 v57, v41, v23
	v_mul_f32_e32 v54, v32, v3
	v_mul_f32_e32 v68, v40, v23
	v_mul_f32_e32 v50, v48, v7
	v_mul_f32_e32 v76, v49, v7
	v_mul_f32_e32 v72, v33, v3
	v_mul_f32_e32 v75, v47, v5
	v_mul_f32_e32 v52, v46, v5
	v_fmac_f32_e32 v54, v33, v2
	v_fmac_f32_e32 v69, v27, v20
	;; [unrolled: 1-line block ×3, first 2 shown]
	v_fma_f32 v33, v26, v20, -v56
	v_fma_f32 v26, v48, v6, -v76
	v_mul_f32_e32 v58, v43, v17
	v_mul_f32_e32 v67, v42, v17
	;; [unrolled: 1-line block ×8, first 2 shown]
	v_fma_f32 v70, v40, v22, -v57
	v_fmac_f32_e32 v68, v41, v22
	v_fmac_f32_e32 v52, v47, v4
	v_fma_f32 v27, v46, v4, -v75
	v_sub_f32_e32 v83, v69, v50
	v_sub_f32_e32 v86, v33, v26
	v_mul_f32_e32 v59, v37, v19
	v_mul_f32_e32 v55, v28, v15
	;; [unrolled: 1-line block ×4, first 2 shown]
	v_fma_f32 v41, v42, v16, -v58
	v_fmac_f32_e32 v67, v43, v16
	v_fmac_f32_e32 v63, v37, v18
	v_fma_f32 v37, v28, v14, -v61
	v_fmac_f32_e32 v62, v31, v0
	v_fmac_f32_e32 v51, v35, v8
	v_fma_f32 v28, v44, v10, -v74
	v_fmac_f32_e32 v53, v45, v10
	v_add_f32_e32 v31, v33, v26
	v_sub_f32_e32 v127, v68, v52
	v_add_f32_e32 v35, v69, v50
	v_sub_f32_e32 v84, v70, v27
	v_mul_f32_e32 v79, 0xbeedf032, v83
	v_mul_f32_e32 v81, 0xbeedf032, v86
	;; [unrolled: 1-line block ×10, first 2 shown]
	v_fma_f32 v40, v36, v18, -v59
	v_fmac_f32_e32 v55, v29, v14
	v_fma_f32 v36, v30, v0, -v71
	v_fma_f32 v30, v32, v2, -v72
	v_fma_f32 v29, v34, v8, -v73
	v_add_f32_e32 v32, v70, v27
	v_add_f32_e32 v34, v68, v52
	v_sub_f32_e32 v131, v67, v53
	v_sub_f32_e32 v91, v41, v28
	v_mul_f32_e32 v77, 0xbf52af12, v127
	v_mul_f32_e32 v80, 0xbf52af12, v84
	;; [unrolled: 1-line block ×8, first 2 shown]
	v_fmamk_f32 v56, v31, 0x3f62ad3f, v79
	v_fma_f32 v58, 0x3f62ad3f, v35, -v81
	v_fmamk_f32 v166, v31, 0x3f116cb1, v87
	v_fma_f32 v168, 0x3f116cb1, v35, -v129
	;; [unrolled: 2-line block ×4, first 2 shown]
	v_fma_f32 v38, v38, v12, -v60
	v_fmac_f32_e32 v66, v39, v12
	v_add_f32_e32 v39, v41, v28
	v_add_f32_e32 v42, v67, v53
	v_sub_f32_e32 v138, v63, v51
	v_sub_f32_e32 v130, v40, v29
	v_mul_f32_e32 v76, 0xbf7e222b, v131
	v_mul_f32_e32 v78, 0xbf7e222b, v91
	v_mul_f32_e32 v88, 0xbe750f2a, v131
	v_mul_f32_e32 v92, 0xbe750f2a, v91
	v_mul_f32_e32 v132, 0x3f6f5d39, v131
	v_mul_f32_e32 v147, 0x3f6f5d39, v91
	v_mul_f32_e32 v151, 0x3eedf032, v131
	v_mul_f32_e32 v155, 0x3eedf032, v91
	v_fmamk_f32 v57, v32, 0x3f116cb1, v77
	v_fma_f32 v59, 0x3f116cb1, v34, -v80
	v_fmamk_f32 v167, v32, 0xbeb58ec6, v85
	v_fma_f32 v169, 0xbeb58ec6, v34, -v128
	v_fmamk_f32 v179, v32, 0xbf788fa5, v139
	v_fma_f32 v181, 0xbf788fa5, v34, -v146
	v_fmamk_f32 v191, v32, 0xbf3f9e67, v158
	v_fma_f32 v193, 0xbf3f9e67, v34, -v161
	v_add_f32_e32 v56, v24, v56
	v_add_f32_e32 v58, v25, v58
	v_add_f32_e32 v166, v24, v166
	v_add_f32_e32 v168, v25, v168
	v_add_f32_e32 v178, v24, v178
	v_add_f32_e32 v180, v25, v180
	v_add_f32_e32 v190, v24, v190
	v_add_f32_e32 v192, v25, v192
	v_add_f32_e32 v43, v40, v29
	v_add_f32_e32 v44, v63, v51
	v_sub_f32_e32 v141, v66, v54
	v_sub_f32_e32 v140, v38, v30
	v_mul_f32_e32 v73, 0xbf6f5d39, v138
	v_mul_f32_e32 v75, 0xbf6f5d39, v130
	v_mul_f32_e32 v89, 0x3f29c268, v138
	v_mul_f32_e32 v93, 0x3f29c268, v130
	v_mul_f32_e32 v135, 0x3eedf032, v138
	v_mul_f32_e32 v148, 0x3eedf032, v130
	v_mul_f32_e32 v152, 0xbf7e222b, v138
	v_mul_f32_e32 v156, 0xbf7e222b, v130
	v_fmamk_f32 v60, v39, 0x3df6dbef, v76
	v_fma_f32 v61, 0x3df6dbef, v42, -v78
	v_fmamk_f32 v170, v39, 0xbf788fa5, v88
	v_fma_f32 v171, 0xbf788fa5, v42, -v92
	v_fmamk_f32 v182, v39, 0xbeb58ec6, v132
	v_fma_f32 v183, 0xbeb58ec6, v42, -v147
	v_fmamk_f32 v194, v39, 0x3f62ad3f, v151
	v_fma_f32 v195, 0x3f62ad3f, v42, -v155
	v_add_f32_e32 v56, v57, v56
	v_add_f32_e32 v57, v59, v58
	v_add_f32_e32 v58, v167, v166
	v_add_f32_e32 v59, v169, v168
	v_add_f32_e32 v166, v179, v178
	v_add_f32_e32 v167, v181, v180
	v_add_f32_e32 v168, v191, v190
	v_add_f32_e32 v169, v193, v192
	;; [unrolled: 28-line block ×3, first 2 shown]
	v_add_f32_e32 v47, v37, v36
	v_add_f32_e32 v48, v55, v62
	v_mul_f32_e32 v49, 0xbe750f2a, v144
	v_mul_f32_e32 v72, 0xbe750f2a, v143
	v_mul_f32_e32 v82, 0x3eedf032, v144
	v_mul_f32_e32 v95, 0x3eedf032, v143
	v_mul_f32_e32 v137, 0xbf29c268, v144
	v_mul_f32_e32 v145, 0xbf29c268, v143
	v_mul_f32_e32 v154, 0x3f52af12, v144
	v_mul_f32_e32 v159, 0x3f52af12, v143
	v_fmamk_f32 v122, v45, 0xbf3f9e67, v71
	v_fma_f32 v163, 0xbf3f9e67, v46, -v74
	v_fmamk_f32 v174, v45, 0x3df6dbef, v90
	v_fma_f32 v175, 0x3df6dbef, v46, -v94
	;; [unrolled: 2-line block ×4, first 2 shown]
	v_add_f32_e32 v56, v117, v56
	v_add_f32_e32 v57, v118, v57
	;; [unrolled: 1-line block ×8, first 2 shown]
	v_fmamk_f32 v164, v47, 0xbf788fa5, v49
	v_fma_f32 v165, 0xbf788fa5, v48, -v72
	v_fmamk_f32 v176, v47, 0x3f62ad3f, v82
	v_fma_f32 v177, 0x3f62ad3f, v48, -v95
	;; [unrolled: 2-line block ×4, first 2 shown]
	v_add_f32_e32 v56, v122, v56
	v_add_f32_e32 v57, v163, v57
	;; [unrolled: 1-line block ×16, first 2 shown]
	v_lshrrev_b32_e32 v122, 1, v119
	s_and_saveexec_b32 s1, s0
	s_cbranch_execz .LBB0_5
; %bb.4:
	v_mul_f32_e32 v197, 0xbf3f9e67, v35
	v_mul_f32_e32 v203, 0x3df6dbef, v34
	;; [unrolled: 1-line block ×5, first 2 shown]
	v_fmamk_f32 v202, v86, 0x3f29c268, v197
	v_fmamk_f32 v207, v84, 0xbf7e222b, v203
	v_mul_f32_e32 v219, 0x3f7e222b, v127
	v_fmamk_f32 v218, v31, 0xbf3f9e67, v215
	v_mul_f32_e32 v216, 0x3f62ad3f, v46
	v_add_f32_e32 v202, v25, v202
	v_mul_f32_e32 v222, 0xbe750f2a, v86
	v_fmamk_f32 v221, v32, 0x3df6dbef, v219
	v_add_f32_e32 v218, v24, v218
	v_mul_f32_e32 v223, 0xbf52af12, v131
	v_add_f32_e32 v202, v207, v202
	v_fmamk_f32 v207, v91, 0x3f52af12, v208
	v_mul_f32_e32 v224, 0x3eedf032, v84
	v_add_f32_e32 v218, v221, v218
	v_fmamk_f32 v221, v35, 0xbf788fa5, v222
	v_fmamk_f32 v225, v39, 0x3f116cb1, v223
	v_add_f32_e32 v202, v207, v202
	v_fmamk_f32 v207, v130, 0xbe750f2a, v212
	v_mul_f32_e32 v226, 0x3e750f2a, v138
	v_add_f32_e32 v221, v25, v221
	v_fmamk_f32 v228, v34, 0x3f62ad3f, v224
	v_mul_f32_e32 v229, 0xbf29c268, v91
	v_add_f32_e32 v202, v207, v202
	v_fmamk_f32 v207, v140, 0xbeedf032, v216
	v_add_f32_e32 v218, v225, v218
	v_fmamk_f32 v225, v43, 0xbf788fa5, v226
	v_mul_f32_e32 v230, 0x3eedf032, v141
	v_add_f32_e32 v221, v228, v221
	v_add_f32_e32 v202, v207, v202
	v_mul_f32_e32 v207, 0xbeb58ec6, v48
	v_fmamk_f32 v228, v42, 0xbf3f9e67, v229
	v_mul_f32_e32 v231, 0x3f52af12, v130
	v_mul_f32_e32 v232, 0xbe750f2a, v83
	v_add_f32_e32 v218, v225, v218
	v_fmamk_f32 v227, v143, 0x3f6f5d39, v207
	v_fmamk_f32 v225, v45, 0x3f62ad3f, v230
	v_add_f32_e32 v221, v228, v221
	v_fmamk_f32 v228, v44, 0x3f116cb1, v231
	v_mul_f32_e32 v233, 0xbf6f5d39, v140
	v_add_f32_e32 v83, v227, v202
	v_fma_f32 v202, 0xbf788fa5, v31, -v232
	v_mul_f32_e32 v127, 0x3eedf032, v127
	v_add_f32_e32 v221, v228, v221
	v_fmamk_f32 v227, v46, 0xbeb58ec6, v233
	v_add_f32_e32 v218, v225, v218
	v_add_f32_e32 v202, v24, v202
	v_fma_f32 v225, 0x3f62ad3f, v32, -v127
	v_mul_f32_e32 v228, 0xbf29c268, v131
	v_fmac_f32_e32 v197, 0xbf29c268, v86
	v_add_f32_e32 v131, v227, v221
	v_mul_f32_e32 v221, 0x3f7e222b, v143
	v_add_f32_e32 v202, v225, v202
	v_fma_f32 v225, 0xbf3f9e67, v39, -v228
	v_fmac_f32_e32 v203, 0x3f7e222b, v84
	v_add_f32_e32 v197, v25, v197
	v_mul_f32_e32 v138, 0x3f52af12, v138
	v_fmamk_f32 v84, v48, 0x3df6dbef, v221
	v_add_f32_e32 v202, v225, v202
	v_fma_f32 v215, 0xbf3f9e67, v31, -v215
	v_add_f32_e32 v197, v203, v197
	v_fma_f32 v203, 0x3f116cb1, v43, -v138
	v_add_f32_e32 v131, v84, v131
	v_fmac_f32_e32 v208, 0xbf52af12, v91
	v_add_f32_e32 v84, v24, v215
	v_fma_f32 v91, 0x3df6dbef, v32, -v219
	v_add_f32_e32 v202, v203, v202
	v_mul_f32_e32 v203, 0xbf6f5d39, v141
	v_mul_f32_e32 v86, 0xbf6f5d39, v144
	v_fmac_f32_e32 v212, 0x3e750f2a, v130
	v_add_f32_e32 v84, v91, v84
	v_fma_f32 v91, 0x3f116cb1, v39, -v223
	v_fma_f32 v130, 0xbeb58ec6, v45, -v203
	v_mul_f32_e32 v144, 0x3f7e222b, v144
	v_mul_f32_e32 v170, 0xbeb58ec6, v35
	v_fmac_f32_e32 v216, 0x3eedf032, v140
	v_add_f32_e32 v84, v91, v84
	v_fma_f32 v91, 0xbf788fa5, v43, -v226
	v_add_f32_e32 v130, v130, v202
	v_fma_f32 v140, 0x3df6dbef, v47, -v144
	v_mul_f32_e32 v169, 0xbeb58ec6, v31
	v_mul_f32_e32 v178, 0xbf3f9e67, v34
	v_add_f32_e32 v84, v91, v84
	v_fma_f32 v91, 0x3f62ad3f, v45, -v230
	v_add_f32_e32 v130, v140, v130
	v_add_f32_e32 v140, v162, v170
	v_mul_f32_e32 v168, 0x3df6dbef, v35
	v_mul_f32_e32 v177, 0xbf3f9e67, v32
	;; [unrolled: 1-line block ×3, first 2 shown]
	v_fmamk_f32 v225, v47, 0xbeb58ec6, v86
	v_fmac_f32_e32 v207, 0xbf6f5d39, v143
	v_sub_f32_e32 v143, v169, v160
	v_add_f32_e32 v84, v91, v84
	v_fma_f32 v86, 0xbeb58ec6, v47, -v86
	v_add_f32_e32 v91, v25, v140
	v_add_f32_e32 v160, v161, v178
	v_mul_f32_e32 v176, 0xbf788fa5, v34
	v_mul_f32_e32 v185, 0x3f62ad3f, v39
	v_mul_f32_e32 v194, 0x3df6dbef, v44
	v_add_f32_e32 v143, v24, v143
	v_sub_f32_e32 v158, v177, v158
	v_add_f32_e32 v140, v86, v84
	v_add_f32_e32 v84, v150, v168
	v_add_f32_e32 v86, v160, v91
	v_add_f32_e32 v91, v155, v186
	v_mul_f32_e32 v184, 0xbeb58ec6, v42
	v_mul_f32_e32 v193, 0x3df6dbef, v43
	v_mul_f32_e32 v205, 0xbf788fa5, v46
	v_add_f32_e32 v143, v158, v143
	v_sub_f32_e32 v150, v185, v151
	v_add_f32_e32 v84, v25, v84
	v_add_f32_e32 v146, v146, v176
	;; [unrolled: 9-line block ×3, first 2 shown]
	v_add_f32_e32 v86, v91, v86
	v_add_f32_e32 v91, v157, v205
	v_mul_f32_e32 v167, 0x3df6dbef, v31
	v_mul_f32_e32 v201, 0x3f116cb1, v46
	v_add_f32_e32 v143, v150, v143
	v_sub_f32_e32 v147, v204, v153
	v_add_f32_e32 v84, v146, v84
	v_add_f32_e32 v146, v148, v192
	;; [unrolled: 1-line block ×4, first 2 shown]
	v_mul_f32_e32 v166, 0x3f116cb1, v35
	v_mul_f32_e32 v175, 0xbf788fa5, v32
	;; [unrolled: 1-line block ×3, first 2 shown]
	v_add_f32_e32 v147, v147, v143
	v_add_f32_e32 v84, v146, v84
	;; [unrolled: 1-line block ×4, first 2 shown]
	v_sub_f32_e32 v86, v167, v142
	v_mul_f32_e32 v165, 0x3f116cb1, v31
	v_mul_f32_e32 v174, 0xbeb58ec6, v34
	;; [unrolled: 1-line block ×3, first 2 shown]
	v_add_f32_e32 v91, v129, v166
	v_add_f32_e32 v84, v146, v84
	;; [unrolled: 1-line block ×4, first 2 shown]
	v_sub_f32_e32 v139, v175, v139
	v_add_f32_e32 v69, v25, v69
	v_add_f32_e32 v33, v24, v33
	v_mul_f32_e32 v163, 0x3f62ad3f, v31
	v_mul_f32_e32 v173, 0xbeb58ec6, v32
	;; [unrolled: 1-line block ×3, first 2 shown]
	v_add_f32_e32 v91, v25, v91
	v_add_f32_e32 v128, v128, v174
	;; [unrolled: 1-line block ×3, first 2 shown]
	v_sub_f32_e32 v84, v165, v87
	v_add_f32_e32 v87, v139, v145
	v_sub_f32_e32 v129, v183, v132
	v_add_f32_e32 v68, v69, v68
	v_add_f32_e32 v33, v33, v70
	v_mul_f32_e32 v171, 0x3f116cb1, v32
	v_mul_f32_e32 v181, 0xbf788fa5, v39
	;; [unrolled: 1-line block ×3, first 2 shown]
	v_add_f32_e32 v91, v128, v91
	v_add_f32_e32 v84, v24, v84
	v_sub_f32_e32 v85, v173, v85
	v_add_f32_e32 v87, v129, v87
	v_sub_f32_e32 v128, v191, v135
	v_sub_f32_e32 v79, v163, v79
	v_add_f32_e32 v67, v68, v67
	v_add_f32_e32 v33, v33, v41
	v_mul_f32_e32 v179, 0x3df6dbef, v39
	v_mul_f32_e32 v189, 0xbf3f9e67, v43
	;; [unrolled: 1-line block ×3, first 2 shown]
	v_add_f32_e32 v84, v85, v84
	v_sub_f32_e32 v85, v181, v88
	v_add_f32_e32 v87, v128, v87
	v_sub_f32_e32 v88, v200, v136
	;; [unrolled: 2-line block ×3, first 2 shown]
	v_add_f32_e32 v63, v67, v63
	v_add_f32_e32 v33, v33, v40
	v_mul_f32_e32 v164, 0x3f62ad3f, v35
	v_mul_f32_e32 v187, 0xbeb58ec6, v43
	v_add_f32_e32 v84, v85, v84
	v_sub_f32_e32 v85, v189, v89
	v_add_f32_e32 v87, v88, v87
	v_sub_f32_e32 v88, v213, v137
	;; [unrolled: 2-line block ×3, first 2 shown]
	v_add_f32_e32 v63, v63, v66
	v_add_f32_e32 v33, v33, v38
	v_mul_f32_e32 v172, 0x3f116cb1, v34
	v_mul_f32_e32 v195, 0xbf3f9e67, v45
	v_add_f32_e32 v84, v85, v84
	v_add_f32_e32 v85, v88, v87
	;; [unrolled: 1-line block ×4, first 2 shown]
	v_sub_f32_e32 v66, v187, v73
	v_add_f32_e32 v55, v63, v55
	v_add_f32_e32 v33, v33, v37
	v_fma_f32 v35, 0xbf788fa5, v35, -v222
	v_fmac_f32_e32 v232, 0xbf788fa5, v31
	v_mul_f32_e32 v180, 0x3df6dbef, v42
	v_mul_f32_e32 v206, 0xbf788fa5, v47
	v_add_f32_e32 v87, v25, v87
	v_add_f32_e32 v80, v80, v172
	;; [unrolled: 1-line block ×3, first 2 shown]
	v_sub_f32_e32 v40, v195, v71
	v_add_f32_e32 v55, v55, v62
	v_add_f32_e32 v31, v33, v36
	;; [unrolled: 1-line block ×3, first 2 shown]
	v_fma_f32 v33, 0x3f62ad3f, v34, -v224
	v_mul_f32_e32 v182, 0xbf788fa5, v42
	v_add_f32_e32 v24, v24, v232
	v_fmac_f32_e32 v127, 0x3f62ad3f, v32
	v_mul_f32_e32 v188, 0xbeb58ec6, v44
	v_add_f32_e32 v80, v80, v87
	v_add_f32_e32 v68, v78, v180
	;; [unrolled: 1-line block ×3, first 2 shown]
	v_sub_f32_e32 v49, v206, v49
	v_add_f32_e32 v54, v55, v54
	v_add_f32_e32 v30, v31, v30
	;; [unrolled: 1-line block ×3, first 2 shown]
	v_fma_f32 v31, 0xbf3f9e67, v42, -v229
	v_mul_f32_e32 v190, 0xbf3f9e67, v44
	v_add_f32_e32 v92, v92, v182
	v_add_f32_e32 v24, v127, v24
	v_fmac_f32_e32 v228, 0xbf3f9e67, v39
	v_mul_f32_e32 v196, 0xbf3f9e67, v46
	v_add_f32_e32 v67, v68, v80
	v_add_f32_e32 v68, v75, v188
	;; [unrolled: 1-line block ×6, first 2 shown]
	v_fma_f32 v31, 0x3f116cb1, v44, -v231
	v_mul_f32_e32 v198, 0x3df6dbef, v45
	v_mul_f32_e32 v199, 0x3df6dbef, v46
	v_add_f32_e32 v91, v92, v91
	v_add_f32_e32 v92, v93, v190
	;; [unrolled: 1-line block ×4, first 2 shown]
	v_fmac_f32_e32 v138, 0x3f116cb1, v43
	v_mul_f32_e32 v209, 0xbf788fa5, v48
	v_add_f32_e32 v41, v68, v67
	v_add_f32_e32 v67, v74, v196
	;; [unrolled: 1-line block ×5, first 2 shown]
	v_fma_f32 v30, 0xbeb58ec6, v46, -v233
	v_mul_u32_u24_e32 v31, 26, v122
	v_mul_f32_e32 v210, 0x3f62ad3f, v47
	v_mul_f32_e32 v211, 0x3f62ad3f, v48
	v_add_f32_e32 v91, v92, v91
	v_add_f32_e32 v92, v94, v199
	v_sub_f32_e32 v90, v198, v90
	v_mul_f32_e32 v217, 0x3f116cb1, v47
	v_add_f32_e32 v141, v212, v141
	v_add_f32_e32 v24, v138, v24
	v_fmac_f32_e32 v203, 0xbeb58ec6, v45
	v_add_f32_e32 v41, v67, v41
	v_add_f32_e32 v62, v72, v209
	;; [unrolled: 1-line block ×5, first 2 shown]
	v_or_b32_e32 v29, v31, v121
	v_add_f32_e32 v89, v92, v91
	v_add_f32_e32 v91, v95, v211
	;; [unrolled: 1-line block ×3, first 2 shown]
	v_sub_f32_e32 v69, v210, v82
	v_add_f32_e32 v141, v216, v141
	v_sub_f32_e32 v148, v217, v154
	v_fma_f32 v30, 0x3df6dbef, v48, -v221
	v_add_f32_e32 v31, v203, v24
	v_fmac_f32_e32 v144, 0x3df6dbef, v47
	v_add_f32_e32 v38, v62, v41
	v_add_f32_e32 v25, v32, v50
	;; [unrolled: 1-line block ×3, first 2 shown]
	v_lshlrev_b32_e32 v29, 3, v29
	v_add_f32_e32 v81, v91, v89
	v_add_f32_e32 v80, v69, v84
	;; [unrolled: 1-line block ×7, first 2 shown]
	ds_write2_b64 v29, v[24:25], v[37:38] offset1:2
	ds_write2_b64 v29, v[80:81], v[85:86] offset0:4 offset1:6
	ds_write2_b64 v29, v[142:143], v[140:141] offset0:8 offset1:10
	;; [unrolled: 1-line block ×5, first 2 shown]
	ds_write_b64 v29, v[117:118] offset:192
.LBB0_5:
	s_or_b32 exec_lo, exec_lo, s1
	v_add_nc_u32_e32 v24, 0x600, v120
	v_add_nc_u32_e32 v25, 0x1800, v120
	;; [unrolled: 1-line block ×3, first 2 shown]
	s_waitcnt lgkmcnt(0)
	s_barrier
	buffer_gl0_inv
	ds_read2_b64 v[44:47], v120 offset1:117
	ds_read2_b64 v[40:43], v24 offset0:42 offset1:198
	ds_read2_b64 v[52:55], v25 offset0:12 offset1:129
	;; [unrolled: 1-line block ×3, first 2 shown]
	ds_read_b64 v[62:63], v120 offset:8112
	v_cmp_gt_u16_e32 vcc_lo, 39, v119
	s_and_saveexec_b32 s1, vcc_lo
	s_cbranch_execz .LBB0_7
; %bb.6:
	ds_read_b64 v[56:57], v120 offset:2808
	ds_read_b64 v[60:61], v120 offset:5928
	;; [unrolled: 1-line block ×3, first 2 shown]
.LBB0_7:
	s_or_b32 exec_lo, exec_lo, s1
	v_and_b32_e32 v24, 0xff, v119
	v_and_b32_e32 v25, 0xff, v64
	v_mov_b32_e32 v26, 0x4ec5
	v_mov_b32_e32 v75, 0x4e
	;; [unrolled: 1-line block ×3, first 2 shown]
	v_mul_lo_u16 v24, 0x4f, v24
	v_mul_lo_u16 v25, 0x4f, v25
	v_lshlrev_b32_e32 v66, 1, v119
	v_lshrrev_b16 v68, 11, v24
	v_mul_u32_u24_sdwa v24, v65, v26 dst_sel:DWORD dst_unused:UNUSED_PAD src0_sel:WORD_0 src1_sel:DWORD
	v_lshrrev_b16 v69, 11, v25
	v_mul_u32_u24_sdwa v26, v133, v26 dst_sel:DWORD dst_unused:UNUSED_PAD src0_sel:WORD_0 src1_sel:DWORD
	v_mul_lo_u16 v25, v68, 26
	v_lshrrev_b32_e32 v70, 19, v24
	v_mul_lo_u16 v24, v69, 26
	v_lshrrev_b32_e32 v71, 19, v26
	v_mul_u32_u24_sdwa v68, v68, v75 dst_sel:DWORD dst_unused:UNUSED_PAD src0_sel:WORD_0 src1_sel:DWORD
	v_sub_nc_u16 v25, v119, v25
	v_mul_lo_u16 v26, v70, 26
	v_sub_nc_u16 v24, v64, v24
	v_mul_u32_u24_sdwa v69, v69, v75 dst_sel:DWORD dst_unused:UNUSED_PAD src0_sel:WORD_0 src1_sel:DWORD
	v_and_b32_e32 v72, 0xff, v25
	v_mul_lo_u16 v25, v71, 26
	v_and_b32_e32 v73, 0xff, v24
	v_sub_nc_u16 v65, v65, v26
	v_lshlrev_b32_e32 v24, 4, v72
	v_sub_nc_u16 v74, v133, v25
	v_lshlrev_b32_e32 v26, 4, v73
	v_lshlrev_b16 v25, 4, v65
	v_mad_u16 v70, 0x4e, v70, v65
	global_load_dwordx4 v[36:39], v24, s[10:11] offset:192
	v_mad_u16 v127, 0x4e, v71, v74
	global_load_dwordx4 v[32:35], v26, s[10:11] offset:192
	v_lshlrev_b16 v24, 4, v74
	v_and_b32_e32 v25, 0xffff, v25
	v_add_lshl_u32 v130, v68, v72, 3
	v_add_lshl_u32 v129, v69, v73, 3
	v_lshlrev_b32_sdwa v128, v67, v70 dst_sel:DWORD dst_unused:UNUSED_PAD src0_sel:DWORD src1_sel:WORD_0
	v_and_b32_e32 v26, 0xffff, v24
	v_add_co_u32 v24, s1, s10, v25
	v_add_co_ci_u32_e64 v25, null, s11, 0, s1
	v_add_co_u32 v26, s1, s10, v26
	v_add_co_ci_u32_e64 v27, null, s11, 0, s1
	s_clause 0x1
	global_load_dwordx4 v[28:31], v[24:25], off offset:192
	global_load_dwordx4 v[24:27], v[26:27], off offset:192
	v_lshlrev_b32_e32 v65, 1, v64
	s_waitcnt vmcnt(0) lgkmcnt(0)
	s_barrier
	buffer_gl0_inv
	v_mul_f32_e32 v68, v43, v37
	v_mul_f32_e32 v69, v42, v37
	;; [unrolled: 1-line block ×8, first 2 shown]
	v_fma_f32 v68, v42, v36, -v68
	v_fmac_f32_e32 v69, v43, v36
	v_fmac_f32_e32 v71, v53, v38
	v_fma_f32 v53, v48, v32, -v72
	v_fmac_f32_e32 v73, v49, v32
	v_fma_f32 v54, v54, v34, -v74
	v_fma_f32 v52, v52, v38, -v70
	v_fmac_f32_e32 v75, v55, v34
	v_mul_f32_e32 v48, v51, v29
	v_mul_f32_e32 v49, v63, v31
	;; [unrolled: 1-line block ×8, first 2 shown]
	v_fma_f32 v76, v50, v28, -v48
	v_fma_f32 v62, v62, v30, -v49
	;; [unrolled: 1-line block ×3, first 2 shown]
	v_fmac_f32_e32 v43, v61, v24
	v_fma_f32 v48, v58, v26, -v74
	v_fmac_f32_e32 v42, v59, v26
	v_add_f32_e32 v72, v47, v73
	v_fmac_f32_e32 v55, v51, v28
	v_fmac_f32_e32 v70, v63, v30
	v_add_f32_e32 v50, v44, v68
	v_add_f32_e32 v63, v46, v53
	;; [unrolled: 1-line block ×3, first 2 shown]
	v_sub_f32_e32 v58, v69, v71
	v_add_f32_e32 v59, v45, v69
	v_add_f32_e32 v60, v69, v71
	v_sub_f32_e32 v61, v68, v52
	v_add_f32_e32 v68, v53, v54
	v_sub_f32_e32 v69, v73, v75
	v_add_f32_e32 v73, v73, v75
	v_sub_f32_e32 v74, v53, v54
	v_add_f32_e32 v53, v72, v75
	v_add_f32_e32 v75, v49, v48
	;; [unrolled: 1-line block ×7, first 2 shown]
	v_fma_f32 v44, -0.5, v51, v44
	v_fma_f32 v45, -0.5, v60, v45
	v_fmac_f32_e32 v47, -0.5, v73
	v_add_f32_e32 v60, v40, v76
	v_sub_f32_e32 v73, v76, v62
	v_sub_f32_e32 v78, v43, v42
	;; [unrolled: 1-line block ×3, first 2 shown]
	v_fma_f32 v76, -0.5, v75, v56
	v_fma_f32 v77, -0.5, v77, v57
	;; [unrolled: 1-line block ×3, first 2 shown]
	v_add_f32_e32 v51, v59, v71
	v_sub_f32_e32 v68, v55, v70
	v_add_f32_e32 v71, v41, v55
	v_fma_f32 v40, -0.5, v63, v40
	v_fmac_f32_e32 v41, -0.5, v72
	v_fmamk_f32 v54, v58, 0x3f5db3d7, v44
	v_fmamk_f32 v55, v61, 0xbf5db3d7, v45
	;; [unrolled: 1-line block ×3, first 2 shown]
	v_fmac_f32_e32 v76, 0xbf5db3d7, v78
	v_fmamk_f32 v91, v79, 0xbf5db3d7, v77
	v_fmac_f32_e32 v77, 0x3f5db3d7, v79
	v_fmac_f32_e32 v44, 0xbf5db3d7, v58
	;; [unrolled: 1-line block ×3, first 2 shown]
	v_fmamk_f32 v58, v69, 0x3f5db3d7, v46
	v_fmamk_f32 v59, v74, 0xbf5db3d7, v47
	v_fmac_f32_e32 v46, 0xbf5db3d7, v69
	v_fmac_f32_e32 v47, 0x3f5db3d7, v74
	v_add_f32_e32 v60, v60, v62
	v_add_f32_e32 v61, v71, v70
	v_fmamk_f32 v62, v68, 0x3f5db3d7, v40
	v_fmamk_f32 v63, v73, 0xbf5db3d7, v41
	v_fmac_f32_e32 v40, 0xbf5db3d7, v68
	v_fmac_f32_e32 v41, 0x3f5db3d7, v73
	ds_write2_b64 v130, v[50:51], v[54:55] offset1:26
	ds_write_b64 v130, v[44:45] offset:416
	ds_write2_b64 v129, v[52:53], v[58:59] offset1:26
	ds_write_b64 v129, v[46:47] offset:416
	;; [unrolled: 2-line block ×3, first 2 shown]
	s_and_saveexec_b32 s1, vcc_lo
	s_cbranch_execz .LBB0_9
; %bb.8:
	v_add_f32_e32 v40, v57, v43
	v_add_f32_e32 v43, v56, v49
	v_lshlrev_b32_sdwa v44, v67, v127 dst_sel:DWORD dst_unused:UNUSED_PAD src0_sel:DWORD src1_sel:WORD_0
	v_add_f32_e32 v41, v40, v42
	v_add_f32_e32 v40, v43, v48
	ds_write2_b64 v44, v[40:41], v[90:91] offset1:26
	ds_write_b64 v44, v[76:77] offset:416
.LBB0_9:
	s_or_b32 exec_lo, exec_lo, s1
	v_add_co_u32 v40, s1, 0xffffffb2, v119
	v_add_co_ci_u32_e64 v41, null, 0, -1, s1
	v_cmp_gt_u16_e64 s1, 0x4e, v119
	s_waitcnt lgkmcnt(0)
	s_barrier
	buffer_gl0_inv
	v_add_nc_u32_e32 v56, 0x400, v120
	v_cndmask_b32_e64 v83, v41, 0, s1
	v_cndmask_b32_e64 v82, v40, v119, s1
	v_add_nc_u32_e32 v135, 0xc00, v120
	v_add_nc_u32_e32 v71, 0x1c00, v120
	;; [unrolled: 1-line block ×3, first 2 shown]
	v_mov_b32_e32 v78, 0x186
	v_lshlrev_b64 v[40:41], 5, v[82:83]
	v_add_nc_u32_e32 v84, 0x600, v120
	v_add_nc_u32_e32 v85, 0x1800, v120
	v_add_co_u32 v40, s1, s10, v40
	v_add_co_ci_u32_e64 v41, s1, s11, v41, s1
	s_clause 0x1
	global_load_dwordx4 v[48:51], v[40:41], off offset:608
	global_load_dwordx4 v[44:47], v[40:41], off offset:624
	v_lshrrev_b16 v40, 1, v64
	v_cmp_lt_u16_e64 s1, 0x4d, v119
	v_and_b32_e32 v40, 0x7f, v40
	v_cndmask_b32_e64 v83, 0, 0x186, s1
	v_mul_lo_u16 v40, 0xd3, v40
	v_add_lshl_u32 v132, v82, v83, 3
	v_lshrrev_b16 v75, 13, v40
	v_mul_lo_u16 v40, 0x4e, v75
	v_mul_u32_u24_sdwa v75, v75, v78 dst_sel:DWORD dst_unused:UNUSED_PAD src0_sel:WORD_0 src1_sel:DWORD
	v_sub_nc_u16 v40, v64, v40
	v_and_b32_e32 v64, 0xff, v40
	v_lshlrev_b32_e32 v40, 5, v64
	s_clause 0x1
	global_load_dwordx4 v[52:55], v40, s[10:11] offset:608
	global_load_dwordx4 v[40:43], v40, s[10:11] offset:624
	ds_read2_b64 v[56:59], v56 offset0:106 offset1:223
	ds_read2_b64 v[60:63], v135 offset0:84 offset1:201
	;; [unrolled: 1-line block ×4, first 2 shown]
	ds_read2_b64 v[78:81], v120 offset1:117
	v_add_lshl_u32 v131, v75, v64, 3
	s_waitcnt vmcnt(0) lgkmcnt(0)
	s_barrier
	buffer_gl0_inv
	v_mul_f32_e32 v64, v57, v49
	v_mul_f32_e32 v75, v56, v49
	;; [unrolled: 1-line block ×8, first 2 shown]
	v_fma_f32 v56, v56, v48, -v64
	v_fmac_f32_e32 v75, v57, v48
	v_fma_f32 v57, v60, v50, -v82
	v_fmac_f32_e32 v83, v61, v50
	;; [unrolled: 2-line block ×3, first 2 shown]
	v_fmac_f32_e32 v87, v68, v44
	v_fma_f32 v82, v71, v46, -v88
	v_add_f32_e32 v60, v78, v56
	v_add_f32_e32 v61, v57, v64
	v_sub_f32_e32 v67, v56, v57
	v_sub_f32_e32 v72, v57, v56
	;; [unrolled: 1-line block ×3, first 2 shown]
	v_add_f32_e32 v71, v56, v82
	v_sub_f32_e32 v92, v64, v82
	v_add_f32_e32 v93, v79, v75
	v_add_f32_e32 v94, v83, v87
	v_sub_f32_e32 v137, v75, v83
	v_sub_f32_e32 v138, v89, v87
	v_add_f32_e32 v139, v75, v89
	v_sub_f32_e32 v86, v75, v89
	v_sub_f32_e32 v75, v83, v75
	;; [unrolled: 1-line block ×6, first 2 shown]
	v_add_f32_e32 v141, v60, v57
	v_fma_f32 v56, -0.5, v61, v78
	v_add_f32_e32 v142, v67, v68
	v_fma_f32 v60, -0.5, v71, v78
	v_add_f32_e32 v78, v72, v92
	v_add_f32_e32 v68, v93, v83
	v_fma_f32 v57, -0.5, v94, v79
	v_add_f32_e32 v83, v137, v138
	v_fma_f32 v61, -0.5, v139, v79
	v_mul_f32_e32 v92, v58, v53
	v_mul_f32_e32 v93, v63, v55
	;; [unrolled: 1-line block ×5, first 2 shown]
	v_add_f32_e32 v75, v75, v140
	v_mul_f32_e32 v79, v59, v53
	v_mul_f32_e32 v139, v74, v43
	;; [unrolled: 1-line block ×3, first 2 shown]
	v_fmamk_f32 v67, v86, 0x3f737871, v56
	v_add_f32_e32 v87, v68, v87
	v_fmamk_f32 v68, v95, 0xbf737871, v57
	v_fmamk_f32 v72, v136, 0x3f737871, v61
	v_fmac_f32_e32 v61, 0xbf737871, v136
	v_fmac_f32_e32 v92, v59, v52
	v_fma_f32 v62, v62, v54, -v93
	v_fmac_f32_e32 v94, v63, v54
	v_fma_f32 v63, v69, v40, -v137
	v_fmac_f32_e32 v138, v70, v40
	v_add_f32_e32 v64, v141, v64
	v_fma_f32 v79, v58, v52, -v79
	v_fma_f32 v69, v73, v42, -v139
	v_fmac_f32_e32 v140, v74, v42
	v_fmac_f32_e32 v56, 0xbf737871, v86
	;; [unrolled: 1-line block ×7, first 2 shown]
	v_add_f32_e32 v70, v62, v63
	v_add_f32_e32 v93, v81, v92
	;; [unrolled: 1-line block ×8, first 2 shown]
	v_fmamk_f32 v71, v88, 0xbf737871, v60
	v_fmac_f32_e32 v60, 0x3f737871, v88
	v_fmac_f32_e32 v56, 0xbf167918, v88
	v_sub_f32_e32 v73, v92, v140
	v_sub_f32_e32 v82, v79, v62
	;; [unrolled: 1-line block ×6, first 2 shown]
	v_fmac_f32_e32 v67, 0x3e9e377a, v142
	v_fmac_f32_e32 v68, 0x3e9e377a, v83
	;; [unrolled: 1-line block ×4, first 2 shown]
	v_fma_f32 v92, -0.5, v70, v80
	v_add_f32_e32 v75, v93, v94
	v_fma_f32 v93, -0.5, v95, v81
	v_fmac_f32_e32 v57, 0x3f167918, v136
	v_sub_f32_e32 v74, v94, v138
	v_sub_f32_e32 v136, v62, v63
	v_add_f32_e32 v62, v64, v62
	v_fma_f32 v80, -0.5, v87, v80
	v_fmac_f32_e32 v81, -0.5, v141
	v_fmac_f32_e32 v71, 0x3f167918, v86
	v_fmac_f32_e32 v60, 0xbf167918, v86
	v_sub_f32_e32 v86, v69, v63
	v_sub_f32_e32 v139, v140, v138
	ds_write2_b64 v132, v[58:59], v[67:68] offset1:78
	v_fmamk_f32 v58, v73, 0x3f737871, v92
	v_fmamk_f32 v59, v79, 0xbf737871, v93
	v_sub_f32_e32 v89, v63, v69
	v_sub_f32_e32 v144, v138, v140
	v_add_f32_e32 v67, v62, v63
	v_fmamk_f32 v62, v74, 0xbf737871, v80
	v_fmac_f32_e32 v80, 0x3f737871, v74
	v_fmamk_f32 v63, v136, 0x3f737871, v81
	v_fmac_f32_e32 v81, 0xbf737871, v136
	v_fmac_f32_e32 v92, 0xbf737871, v73
	;; [unrolled: 1-line block ×5, first 2 shown]
	v_add_f32_e32 v64, v82, v86
	v_add_f32_e32 v78, v137, v139
	;; [unrolled: 1-line block ×3, first 2 shown]
	v_fmac_f32_e32 v58, 0x3f167918, v74
	v_fmac_f32_e32 v59, 0xbf167918, v136
	v_add_f32_e32 v70, v88, v89
	v_add_f32_e32 v82, v143, v144
	v_fmac_f32_e32 v62, 0x3f167918, v73
	v_fmac_f32_e32 v80, 0xbf167918, v73
	v_fmac_f32_e32 v63, 0xbf167918, v79
	v_fmac_f32_e32 v81, 0x3f167918, v79
	v_fmac_f32_e32 v92, 0xbf167918, v74
	v_fmac_f32_e32 v93, 0x3f167918, v136
	v_fmac_f32_e32 v56, 0x3e9e377a, v142
	v_fmac_f32_e32 v57, 0x3e9e377a, v83
	v_add_f32_e32 v67, v67, v69
	v_add_f32_e32 v68, v68, v140
	v_fmac_f32_e32 v58, 0x3e9e377a, v64
	v_fmac_f32_e32 v59, 0x3e9e377a, v78
	;; [unrolled: 1-line block ×8, first 2 shown]
	ds_write2_b64 v132, v[71:72], v[60:61] offset0:156 offset1:234
	ds_write_b64 v132, v[56:57] offset:2496
	ds_write2_b64 v131, v[67:68], v[58:59] offset1:78
	ds_write2_b64 v131, v[62:63], v[80:81] offset0:156 offset1:234
	ds_write_b64 v131, v[92:93] offset:2496
	s_waitcnt lgkmcnt(0)
	s_barrier
	buffer_gl0_inv
	ds_read2_b64 v[78:81], v120 offset1:117
	ds_read2_b64 v[72:75], v84 offset0:42 offset1:198
	ds_read2_b64 v[82:85], v85 offset0:12 offset1:129
	;; [unrolled: 1-line block ×3, first 2 shown]
	ds_read_b64 v[94:95], v120 offset:8112
	s_and_saveexec_b32 s1, vcc_lo
	s_cbranch_execz .LBB0_11
; %bb.10:
	ds_read_b64 v[92:93], v120 offset:2808
	ds_read_b64 v[90:91], v120 offset:5928
	;; [unrolled: 1-line block ×3, first 2 shown]
.LBB0_11:
	s_or_b32 exec_lo, exec_lo, s1
	v_lshlrev_b32_e32 v56, 3, v66
	v_lshlrev_b32_e32 v60, 3, v65
	v_add_co_u32 v56, s1, s10, v56
	v_add_co_ci_u32_e64 v57, null, s11, 0, s1
	v_add_co_u32 v56, s1, 0x800, v56
	v_add_co_ci_u32_e64 v57, s1, 0, v57, s1
	v_add_co_u32 v58, s1, s10, v125
	v_add_co_ci_u32_e64 v59, null, s11, 0, s1
	v_add_co_u32 v58, s1, 0x800, v58
	v_add_co_ci_u32_e64 v59, s1, 0, v59, s1
	v_add_co_u32 v64, s1, s10, v60
	v_add_co_ci_u32_e64 v65, null, s11, 0, s1
	global_load_dwordx4 v[60:63], v[58:59], off offset:1056
	v_add_co_u32 v58, s1, 0x800, v64
	v_add_co_ci_u32_e64 v59, s1, 0, v65, s1
	s_clause 0x1
	global_load_dwordx4 v[68:71], v[56:57], off offset:1056
	global_load_dwordx4 v[64:67], v[58:59], off offset:1056
	v_add_co_u32 v56, s1, 0xffffffd9, v119
	v_add_co_ci_u32_e64 v57, null, 0, -1, s1
	v_cndmask_b32_e32 v56, v56, v133, vcc_lo
	v_add_nc_u32_e32 v133, 0x1d40, v126
	v_cndmask_b32_e32 v57, v57, v134, vcc_lo
	v_lshlrev_b64 v[56:57], 4, v[56:57]
	v_add_co_u32 v56, s1, s10, v56
	v_add_co_ci_u32_e64 v57, s1, s11, v57, s1
	v_add_co_u32 v56, s1, 0x800, v56
	v_add_co_ci_u32_e64 v57, s1, 0, v57, s1
	global_load_dwordx4 v[56:59], v[56:57], off offset:1056
	s_waitcnt vmcnt(3) lgkmcnt(1)
	v_mul_f32_e32 v134, v89, v61
	v_mul_f32_e32 v136, v88, v61
	s_waitcnt lgkmcnt(0)
	v_mul_f32_e32 v137, v95, v63
	v_mul_f32_e32 v138, v94, v63
	v_fma_f32 v88, v88, v60, -v134
	s_waitcnt vmcnt(2)
	v_mul_f32_e32 v139, v75, v69
	v_mul_f32_e32 v140, v74, v69
	;; [unrolled: 1-line block ×4, first 2 shown]
	s_waitcnt vmcnt(1)
	v_mul_f32_e32 v143, v87, v65
	v_mul_f32_e32 v145, v85, v67
	;; [unrolled: 1-line block ×3, first 2 shown]
	v_fmac_f32_e32 v136, v89, v60
	v_fma_f32 v89, v94, v62, -v137
	v_mul_f32_e32 v144, v86, v65
	v_fmac_f32_e32 v138, v95, v62
	v_fma_f32 v74, v74, v68, -v139
	v_fmac_f32_e32 v140, v75, v68
	v_fma_f32 v82, v82, v70, -v141
	;; [unrolled: 2-line block ×3, first 2 shown]
	v_fma_f32 v83, v84, v66, -v145
	v_fmac_f32_e32 v146, v85, v66
	v_add_f32_e32 v85, v88, v89
	v_add_f32_e32 v86, v73, v136
	v_fmac_f32_e32 v144, v87, v64
	v_add_f32_e32 v84, v72, v88
	v_sub_f32_e32 v134, v136, v138
	v_add_f32_e32 v87, v136, v138
	v_sub_f32_e32 v139, v88, v89
	v_add_f32_e32 v88, v78, v74
	v_add_f32_e32 v94, v74, v82
	v_sub_f32_e32 v141, v140, v142
	v_add_f32_e32 v95, v79, v140
	;; [unrolled: 3-line block ×3, first 2 shown]
	v_add_f32_e32 v143, v75, v83
	v_sub_f32_e32 v148, v75, v83
	v_fma_f32 v72, -0.5, v85, v72
	v_add_f32_e32 v85, v86, v138
	s_waitcnt vmcnt(0)
	v_mul_f32_e32 v138, v91, v57
	v_mul_f32_e32 v75, v90, v57
	;; [unrolled: 1-line block ×4, first 2 shown]
	v_add_f32_e32 v86, v88, v82
	v_fma_f32 v88, -0.5, v94, v78
	v_add_f32_e32 v94, v137, v83
	v_fma_f32 v82, v90, v56, -v138
	v_fmac_f32_e32 v75, v91, v56
	v_fma_f32 v83, v76, v58, -v149
	v_fmac_f32_e32 v74, v77, v58
	v_add_f32_e32 v84, v84, v89
	v_fma_f32 v89, -0.5, v136, v79
	v_sub_f32_e32 v145, v144, v146
	v_add_f32_e32 v78, v82, v83
	v_add_f32_e32 v79, v75, v74
	v_add_f32_e32 v147, v81, v144
	v_add_f32_e32 v144, v144, v146
	v_fmamk_f32 v136, v134, 0x3f5db3d7, v72
	v_fmac_f32_e32 v72, 0xbf5db3d7, v134
	v_fmamk_f32 v76, v141, 0x3f5db3d7, v88
	v_fmamk_f32 v77, v140, 0xbf5db3d7, v89
	v_sub_f32_e32 v134, v75, v74
	v_fma_f32 v78, -0.5, v78, v92
	v_sub_f32_e32 v138, v82, v83
	v_fma_f32 v79, -0.5, v79, v93
	v_fma_f32 v80, -0.5, v143, v80
	v_fmac_f32_e32 v81, -0.5, v144
	v_fmac_f32_e32 v88, 0xbf5db3d7, v141
	v_fmac_f32_e32 v89, 0x3f5db3d7, v140
	v_fmac_f32_e32 v73, -0.5, v87
	v_add_f32_e32 v87, v95, v142
	v_add_f32_e32 v95, v147, v146
	ds_write_b64 v120, v[76:77] offset:3120
	ds_write_b64 v120, v[88:89] offset:6240
	v_fmamk_f32 v76, v134, 0x3f5db3d7, v78
	v_fmac_f32_e32 v78, 0xbf5db3d7, v134
	v_fmamk_f32 v77, v138, 0xbf5db3d7, v79
	v_fmac_f32_e32 v79, 0x3f5db3d7, v138
	v_fmamk_f32 v90, v145, 0x3f5db3d7, v80
	v_fmac_f32_e32 v80, 0xbf5db3d7, v145
	v_fmamk_f32 v91, v148, 0xbf5db3d7, v81
	v_fmac_f32_e32 v81, 0x3f5db3d7, v148
	v_fmamk_f32 v137, v139, 0xbf5db3d7, v73
	v_fmac_f32_e32 v73, 0x3f5db3d7, v139
	ds_write2_b64 v120, v[86:87], v[94:95] offset1:117
	ds_write_b64 v120, v[80:81] offset:7176
	ds_write_b64 v120, v[84:85] offset:1872
	ds_write2_b64 v135, v[90:91], v[136:137] offset0:123 offset1:240
	ds_write_b64 v120, v[72:73] offset:8112
	s_and_saveexec_b32 s1, vcc_lo
	s_cbranch_execz .LBB0_13
; %bb.12:
	v_add_f32_e32 v72, v93, v75
	v_add_f32_e32 v75, v92, v82
	;; [unrolled: 1-line block ×4, first 2 shown]
	ds_write_b64 v120, v[76:77] offset:5928
	ds_write_b64 v120, v[72:73] offset:2808
	;; [unrolled: 1-line block ×3, first 2 shown]
.LBB0_13:
	s_or_b32 exec_lo, exec_lo, s1
	v_lshlrev_b32_e32 v72, 3, v119
	s_waitcnt lgkmcnt(0)
	s_barrier
	buffer_gl0_inv
	v_add_nc_u32_e32 v157, 0xc00, v120
	v_add_co_u32 v86, s1, s8, v72
	v_add_co_ci_u32_e64 v87, null, s9, 0, s1
	v_add_nc_u32_e32 v134, 0x1400, v120
	v_add_co_u32 v72, s1, 0x2000, v86
	v_add_co_ci_u32_e64 v73, s1, 0, v87, s1
	v_add_nc_u32_e32 v158, 0x1c00, v120
	v_add_nc_u32_e32 v137, 0x400, v120
	;; [unrolled: 1-line block ×3, first 2 shown]
	global_load_dwordx2 v[80:81], v[72:73], off offset:1168
	v_add_co_u32 v72, s1, 0x2490, v86
	v_add_co_ci_u32_e64 v73, s1, 0, v87, s1
	v_add_co_u32 v74, s1, 0x3000, v86
	v_add_co_ci_u32_e64 v75, s1, 0, v87, s1
	;; [unrolled: 2-line block ×3, first 2 shown]
	global_load_dwordx2 v[139:140], v[72:73], off offset:936
	v_add_co_u32 v84, s1, 0x2800, v86
	v_add_co_ci_u32_e64 v85, s1, 0, v87, s1
	s_clause 0x3
	global_load_dwordx2 v[141:142], v[74:75], off offset:1752
	global_load_dwordx2 v[143:144], v[82:83], off offset:640
	;; [unrolled: 1-line block ×4, first 2 shown]
	v_add_co_u32 v72, s1, 0x4000, v86
	v_add_co_ci_u32_e64 v73, s1, 0, v87, s1
	s_clause 0x3
	global_load_dwordx2 v[149:150], v[82:83], off offset:1576
	global_load_dwordx2 v[151:152], v[84:85], off offset:1928
	;; [unrolled: 1-line block ×4, first 2 shown]
	ds_read2_b64 v[72:75], v120 offset1:117
	v_add_nc_u32_e32 v135, 0x1800, v120
	v_add_nc_u32_e32 v138, 0x800, v120
	s_waitcnt vmcnt(9) lgkmcnt(0)
	v_mul_f32_e32 v83, v73, v81
	v_mul_f32_e32 v82, v72, v81
	v_fma_f32 v81, v72, v80, -v83
	v_fmac_f32_e32 v82, v73, v80
	ds_write_b64 v120, v[81:82]
	ds_read2_b64 v[80:83], v157 offset0:84 offset1:201
	ds_read2_b64 v[84:87], v134 offset0:62 offset1:179
	;; [unrolled: 1-line block ×4, first 2 shown]
	s_waitcnt vmcnt(8)
	v_mul_f32_e32 v72, v75, v140
	v_mul_f32_e32 v73, v74, v140
	v_fma_f32 v72, v74, v139, -v72
	v_fmac_f32_e32 v73, v75, v139
	s_waitcnt vmcnt(7) lgkmcnt(3)
	v_mul_f32_e32 v74, v83, v142
	v_mul_f32_e32 v75, v82, v142
	s_waitcnt vmcnt(6) lgkmcnt(2)
	v_mul_f32_e32 v139, v85, v144
	v_mul_f32_e32 v140, v84, v144
	;; [unrolled: 3-line block ×3, first 2 shown]
	s_waitcnt vmcnt(3)
	v_mul_f32_e32 v160, v87, v150
	v_mul_f32_e32 v144, v86, v150
	s_waitcnt vmcnt(1) lgkmcnt(0)
	v_mul_f32_e32 v162, v93, v154
	v_mul_f32_e32 v150, v92, v154
	;; [unrolled: 1-line block ×6, first 2 shown]
	s_waitcnt vmcnt(0)
	v_mul_f32_e32 v163, v95, v156
	v_mul_f32_e32 v146, v94, v156
	v_fma_f32 v74, v82, v141, -v74
	v_fmac_f32_e32 v75, v83, v141
	v_fma_f32 v139, v84, v143, -v139
	v_fmac_f32_e32 v140, v85, v143
	;; [unrolled: 2-line block ×8, first 2 shown]
	ds_write2_b64 v136, v[74:75], v[139:140] offset0:73 offset1:190
	ds_write2_b64 v120, v[72:73], v[141:142] offset0:117 offset1:234
	;; [unrolled: 1-line block ×4, first 2 shown]
	ds_write_b64 v120, v[145:146] offset:8424
	s_waitcnt lgkmcnt(0)
	s_barrier
	buffer_gl0_inv
	ds_read2_b64 v[139:142], v120 offset1:117
	ds_read2_b64 v[80:83], v157 offset0:84 offset1:201
	ds_read2_b64 v[84:87], v134 offset0:62 offset1:179
	;; [unrolled: 1-line block ×4, first 2 shown]
	s_waitcnt lgkmcnt(0)
	s_barrier
	buffer_gl0_inv
	v_sub_f32_e32 v74, v139, v82
	v_sub_f32_e32 v75, v140, v83
	;; [unrolled: 1-line block ×10, first 2 shown]
	v_fma_f32 v72, v139, 2.0, -v74
	v_fma_f32 v73, v140, 2.0, -v75
	;; [unrolled: 1-line block ×10, first 2 shown]
	ds_write_b128 v126, v[72:75]
	ds_write_b128 v124, v[92:95]
	;; [unrolled: 1-line block ×5, first 2 shown]
	s_waitcnt lgkmcnt(0)
	s_barrier
	buffer_gl0_inv
	s_and_saveexec_b32 s1, s0
	s_cbranch_execz .LBB0_15
; %bb.14:
	ds_read2_b64 v[72:75], v120 offset1:90
	ds_read2_b64 v[92:95], v137 offset0:52 offset1:142
	ds_read2_b64 v[88:91], v138 offset0:104 offset1:194
	;; [unrolled: 1-line block ×5, first 2 shown]
	ds_read_b64 v[117:118], v120 offset:8640
.LBB0_15:
	s_or_b32 exec_lo, exec_lo, s1
	s_waitcnt lgkmcnt(6)
	v_mul_f32_e32 v123, v21, v75
	v_mul_f32_e32 v21, v21, v74
	s_waitcnt lgkmcnt(5)
	v_mul_f32_e32 v124, v23, v93
	v_mul_f32_e32 v126, v23, v92
	;; [unrolled: 1-line block ×4, first 2 shown]
	v_fmac_f32_e32 v123, v20, v74
	v_fma_f32 v125, v20, v75, -v21
	v_fmac_f32_e32 v124, v22, v92
	s_waitcnt lgkmcnt(4)
	v_mul_f32_e32 v74, v19, v89
	v_fma_f32 v92, v22, v93, -v126
	v_fmac_f32_e32 v23, v16, v94
	v_fma_f32 v75, v16, v95, -v17
	v_mul_f32_e32 v16, v19, v88
	v_mul_f32_e32 v22, v13, v91
	;; [unrolled: 1-line block ×3, first 2 shown]
	v_fmac_f32_e32 v74, v18, v88
	s_waitcnt lgkmcnt(3)
	v_mul_f32_e32 v13, v15, v85
	v_fma_f32 v88, v18, v89, -v16
	v_mul_f32_e32 v15, v15, v84
	v_fmac_f32_e32 v22, v12, v90
	v_fma_f32 v89, v12, v91, -v17
	v_mul_f32_e32 v12, v1, v87
	v_mul_f32_e32 v1, v1, v86
	v_fmac_f32_e32 v13, v14, v84
	v_fma_f32 v15, v14, v85, -v15
	s_waitcnt lgkmcnt(2)
	v_mul_f32_e32 v14, v3, v81
	v_mul_f32_e32 v16, v3, v80
	v_fmac_f32_e32 v12, v0, v86
	v_fma_f32 v84, v0, v87, -v1
	s_waitcnt lgkmcnt(0)
	v_mul_f32_e32 v0, v7, v117
	v_fmac_f32_e32 v14, v2, v80
	v_fma_f32 v80, v2, v81, -v16
	v_mul_f32_e32 v1, v7, v118
	v_mul_f32_e32 v3, v9, v83
	v_fma_f32 v2, v6, v118, -v0
	v_mul_f32_e32 v16, v9, v82
	v_mul_f32_e32 v9, v11, v77
	;; [unrolled: 1-line block ×3, first 2 shown]
	v_fmac_f32_e32 v1, v6, v117
	v_sub_f32_e32 v81, v125, v2
	v_add_f32_e32 v91, v2, v125
	v_fmac_f32_e32 v9, v10, v76
	v_fma_f32 v10, v10, v77, -v0
	v_mul_f32_e32 v6, v5, v79
	v_add_f32_e32 v0, v1, v123
	v_mul_f32_e32 v7, v5, v78
	v_sub_f32_e32 v5, v123, v1
	v_mul_f32_e32 v117, 0x3f116cb1, v91
	v_mul_f32_e32 v134, 0xbf7e222b, v81
	v_fmac_f32_e32 v3, v8, v82
	v_fma_f32 v11, v8, v83, -v16
	v_fmac_f32_e32 v6, v4, v78
	v_fma_f32 v8, v4, v79, -v7
	v_fmamk_f32 v4, v5, 0xbf52af12, v117
	v_mul_f32_e32 v145, 0xbf6f5d39, v81
	v_fma_f32 v7, 0x3df6dbef, v0, -v134
	v_mul_f32_e32 v151, 0xbeb58ec6, v91
	v_mul_f32_e32 v94, 0xbf52af12, v81
	v_add_f32_e32 v18, v73, v4
	v_fma_f32 v4, 0xbeb58ec6, v0, -v145
	v_add_f32_e32 v19, v72, v7
	v_sub_f32_e32 v85, v92, v8
	v_fmamk_f32 v7, v5, 0xbf6f5d39, v151
	v_add_f32_e32 v95, v8, v92
	v_fma_f32 v16, 0x3f116cb1, v0, -v94
	v_mul_f32_e32 v140, 0x3df6dbef, v91
	v_add_f32_e32 v20, v72, v4
	v_add_f32_e32 v4, v6, v124
	v_mul_f32_e32 v126, 0xbf6f5d39, v85
	v_add_f32_e32 v21, v73, v7
	v_sub_f32_e32 v7, v124, v6
	v_mul_f32_e32 v136, 0xbeb58ec6, v95
	v_add_f32_e32 v16, v72, v16
	v_fmamk_f32 v17, v5, 0xbf7e222b, v140
	v_mul_f32_e32 v143, 0xbe750f2a, v85
	v_fma_f32 v76, 0xbeb58ec6, v4, -v126
	v_mul_f32_e32 v146, 0xbf788fa5, v95
	v_mul_f32_e32 v153, 0x3f29c268, v85
	v_fmamk_f32 v77, v7, 0xbf6f5d39, v136
	v_add_f32_e32 v133, v10, v75
	v_add_f32_e32 v17, v73, v17
	v_fma_f32 v78, 0xbf788fa5, v4, -v143
	v_add_f32_e32 v16, v76, v16
	v_fmamk_f32 v76, v7, 0xbe750f2a, v146
	v_fma_f32 v79, 0xbf3f9e67, v4, -v153
	v_add_f32_e32 v18, v77, v18
	v_mul_f32_e32 v159, 0xbf3f9e67, v95
	v_sub_f32_e32 v90, v75, v10
	v_sub_f32_e32 v77, v23, v9
	v_mul_f32_e32 v141, 0xbf788fa5, v133
	v_add_f32_e32 v19, v78, v19
	v_add_f32_e32 v17, v76, v17
	v_add_f32_e32 v20, v79, v20
	v_fmamk_f32 v78, v7, 0x3f29c268, v159
	v_add_f32_e32 v76, v9, v23
	v_mul_f32_e32 v137, 0xbe750f2a, v90
	v_mul_f32_e32 v150, 0xbeb58ec6, v133
	v_fmamk_f32 v79, v77, 0xbe750f2a, v141
	v_add_f32_e32 v138, v11, v88
	v_mul_f32_e32 v148, 0x3f6f5d39, v90
	v_add_f32_e32 v21, v78, v21
	v_fma_f32 v78, 0xbf788fa5, v76, -v137
	v_mul_f32_e32 v160, 0x3eedf032, v90
	v_fmamk_f32 v83, v77, 0x3f6f5d39, v150
	v_add_f32_e32 v18, v79, v18
	v_sub_f32_e32 v79, v74, v3
	v_mul_f32_e32 v156, 0x3f62ad3f, v138
	v_fma_f32 v82, 0xbeb58ec6, v76, -v148
	v_add_f32_e32 v16, v78, v16
	v_fma_f32 v78, 0x3f62ad3f, v76, -v160
	v_add_f32_e32 v17, v83, v17
	v_mul_f32_e32 v164, 0x3f62ad3f, v133
	v_sub_f32_e32 v93, v88, v11
	v_fmamk_f32 v118, v79, 0x3eedf032, v156
	v_add_f32_e32 v19, v82, v19
	v_add_f32_e32 v20, v78, v20
	;; [unrolled: 1-line block ×3, first 2 shown]
	v_mul_f32_e32 v144, 0x3f29c268, v93
	v_mul_f32_e32 v147, 0xbf3f9e67, v138
	v_fmamk_f32 v82, v77, 0x3eedf032, v164
	v_add_f32_e32 v17, v118, v17
	v_sub_f32_e32 v118, v89, v80
	v_mul_f32_e32 v154, 0x3eedf032, v93
	v_fma_f32 v83, 0xbf3f9e67, v78, -v144
	v_fmamk_f32 v86, v79, 0x3f29c268, v147
	v_add_f32_e32 v21, v82, v21
	v_mul_f32_e32 v163, 0xbf7e222b, v93
	v_add_f32_e32 v139, v80, v89
	v_add_f32_e32 v82, v14, v22
	v_mul_f32_e32 v149, 0x3f7e222b, v118
	v_fma_f32 v87, 0x3f62ad3f, v78, -v154
	v_add_f32_e32 v16, v83, v16
	v_add_f32_e32 v18, v86, v18
	v_mul_f32_e32 v167, 0x3df6dbef, v138
	v_sub_f32_e32 v83, v22, v14
	v_mul_f32_e32 v152, 0x3df6dbef, v139
	v_fma_f32 v86, 0x3df6dbef, v78, -v163
	v_mul_f32_e32 v157, 0xbf52af12, v118
	v_fma_f32 v135, 0x3df6dbef, v82, -v149
	v_add_f32_e32 v19, v87, v19
	v_fmamk_f32 v87, v79, 0xbf7e222b, v167
	v_fmamk_f32 v142, v83, 0x3f7e222b, v152
	v_add_f32_e32 v20, v86, v20
	v_fma_f32 v86, 0x3f116cb1, v82, -v157
	v_add_f32_e32 v16, v135, v16
	v_mul_f32_e32 v161, 0x3f116cb1, v139
	v_sub_f32_e32 v135, v15, v84
	v_mul_f32_e32 v169, 0xbf788fa5, v139
	v_add_f32_e32 v21, v87, v21
	v_add_f32_e32 v171, v142, v18
	;; [unrolled: 1-line block ×3, first 2 shown]
	v_mul_f32_e32 v166, 0x3e750f2a, v118
	v_fmamk_f32 v18, v83, 0xbf52af12, v161
	v_add_f32_e32 v86, v12, v13
	v_mul_f32_e32 v155, 0x3eedf032, v135
	v_fmamk_f32 v87, v83, 0x3e750f2a, v169
	v_add_f32_e32 v142, v84, v15
	v_fma_f32 v19, 0xbf788fa5, v82, -v166
	v_add_f32_e32 v17, v18, v17
	v_fma_f32 v18, 0x3f62ad3f, v86, -v155
	v_add_f32_e32 v174, v87, v21
	v_sub_f32_e32 v87, v13, v12
	v_mul_f32_e32 v158, 0x3f62ad3f, v142
	v_mul_f32_e32 v162, 0xbf29c268, v135
	;; [unrolled: 1-line block ×5, first 2 shown]
	v_add_f32_e32 v173, v19, v20
	v_add_f32_e32 v18, v18, v16
	v_fmamk_f32 v16, v87, 0x3eedf032, v158
	v_fma_f32 v20, 0xbf3f9e67, v86, -v162
	v_fmamk_f32 v21, v87, 0xbf29c268, v165
	v_fma_f32 v175, 0x3f116cb1, v86, -v168
	v_fmamk_f32 v176, v87, 0x3f52af12, v170
	v_add_f32_e32 v19, v16, v171
	v_add_f32_e32 v20, v20, v172
	;; [unrolled: 1-line block ×5, first 2 shown]
	s_barrier
	buffer_gl0_inv
	s_and_saveexec_b32 s1, s0
	s_cbranch_execz .LBB0_17
; %bb.16:
	v_mul_f32_e32 v175, 0xbeb58ec6, v0
	v_mul_f32_e32 v179, 0x3df6dbef, v0
	;; [unrolled: 1-line block ×5, first 2 shown]
	v_add_f32_e32 v145, v175, v145
	v_mul_f32_e32 v183, 0xbf788fa5, v4
	v_mul_f32_e32 v184, 0xbe750f2a, v7
	;; [unrolled: 1-line block ×3, first 2 shown]
	v_add_f32_e32 v153, v185, v153
	v_add_f32_e32 v145, v72, v145
	v_sub_f32_e32 v140, v140, v180
	v_add_f32_e32 v134, v179, v134
	v_mul_f32_e32 v177, 0x3f116cb1, v0
	v_mul_f32_e32 v182, 0xbf6f5d39, v7
	;; [unrolled: 1-line block ×4, first 2 shown]
	v_add_f32_e32 v145, v153, v145
	v_add_f32_e32 v153, v191, v160
	v_add_f32_e32 v140, v73, v140
	v_sub_f32_e32 v160, v146, v184
	v_add_f32_e32 v134, v72, v134
	v_add_f32_e32 v143, v183, v143
	v_sub_f32_e32 v117, v117, v178
	v_mul_f32_e32 v181, 0xbeb58ec6, v4
	v_mul_f32_e32 v188, 0xbe750f2a, v77
	;; [unrolled: 1-line block ×4, first 2 shown]
	v_add_f32_e32 v140, v160, v140
	v_sub_f32_e32 v150, v150, v190
	v_add_f32_e32 v134, v143, v134
	v_add_f32_e32 v143, v189, v148
	;; [unrolled: 1-line block ×3, first 2 shown]
	v_sub_f32_e32 v136, v136, v182
	v_add_f32_e32 v94, v177, v94
	v_mul_f32_e32 v187, 0xbf788fa5, v76
	v_mul_f32_e32 v194, 0x3f29c268, v79
	;; [unrolled: 1-line block ×4, first 2 shown]
	v_add_f32_e32 v140, v150, v140
	v_sub_f32_e32 v150, v156, v196
	v_add_f32_e32 v134, v143, v134
	v_add_f32_e32 v143, v195, v154
	;; [unrolled: 1-line block ×3, first 2 shown]
	v_sub_f32_e32 v136, v141, v188
	v_add_f32_e32 v94, v72, v94
	v_add_f32_e32 v126, v181, v126
	v_mul_f32_e32 v193, 0xbf3f9e67, v78
	v_mul_f32_e32 v200, 0x3f7e222b, v83
	;; [unrolled: 1-line block ×4, first 2 shown]
	v_add_f32_e32 v140, v150, v140
	v_sub_f32_e32 v148, v161, v202
	v_add_f32_e32 v134, v143, v134
	v_add_f32_e32 v143, v201, v157
	;; [unrolled: 1-line block ×3, first 2 shown]
	v_sub_f32_e32 v136, v147, v194
	v_add_f32_e32 v94, v126, v94
	v_add_f32_e32 v126, v187, v137
	v_mul_f32_e32 v199, 0x3df6dbef, v82
	v_mul_f32_e32 v174, 0x3f7e222b, v7
	v_add_f32_e32 v140, v148, v140
	v_sub_f32_e32 v148, v165, v209
	v_add_f32_e32 v134, v143, v134
	v_add_f32_e32 v137, v208, v162
	;; [unrolled: 1-line block ×3, first 2 shown]
	v_sub_f32_e32 v136, v152, v200
	v_add_f32_e32 v94, v126, v94
	v_add_f32_e32 v126, v193, v144
	;; [unrolled: 1-line block ×3, first 2 shown]
	v_mul_f32_e32 v205, 0x3f62ad3f, v86
	v_fmamk_f32 v172, v95, 0x3df6dbef, v174
	v_mul_f32_e32 v224, 0x3f62ad3f, v95
	v_fma_f32 v174, 0x3df6dbef, v95, -v174
	v_add_f32_e32 v141, v148, v140
	v_add_f32_e32 v140, v137, v134
	v_mul_f32_e32 v137, 0x3f116cb1, v95
	v_add_f32_e32 v95, v136, v117
	v_add_f32_e32 v94, v126, v94
	;; [unrolled: 1-line block ×3, first 2 shown]
	v_mul_f32_e32 v173, 0xbf29c268, v5
	v_add_f32_e32 v123, v124, v123
	v_mul_f32_e32 v207, 0xbf52af12, v77
	v_mul_f32_e32 v210, 0xbf29c268, v81
	v_add_f32_e32 v94, v117, v94
	v_add_f32_e32 v117, v205, v155
	v_fmamk_f32 v171, v91, 0xbf3f9e67, v173
	v_add_f32_e32 v23, v23, v123
	v_mul_f32_e32 v211, 0x3e750f2a, v79
	v_fma_f32 v213, 0xbf3f9e67, v0, -v210
	v_add_f32_e32 v94, v117, v94
	v_add_f32_e32 v117, v125, v73
	;; [unrolled: 1-line block ×4, first 2 shown]
	v_mul_f32_e32 v214, 0x3f7e222b, v85
	v_mul_f32_e32 v215, 0x3eedf032, v83
	v_add_f32_e32 v92, v92, v117
	v_add_f32_e32 v171, v172, v171
	v_fmamk_f32 v172, v133, 0x3f116cb1, v207
	v_add_f32_e32 v22, v22, v23
	v_add_f32_e32 v213, v72, v213
	;; [unrolled: 1-line block ×3, first 2 shown]
	v_fma_f32 v216, 0x3df6dbef, v4, -v214
	v_add_f32_e32 v171, v172, v171
	v_fmamk_f32 v172, v138, 0xbf788fa5, v211
	v_mul_f32_e32 v217, 0xbf52af12, v90
	v_add_f32_e32 v22, v13, v22
	v_add_f32_e32 v75, v88, v75
	;; [unrolled: 1-line block ×4, first 2 shown]
	v_fmamk_f32 v172, v139, 0x3f62ad3f, v215
	v_fma_f32 v216, 0x3f116cb1, v76, -v217
	v_mul_f32_e32 v219, 0x3e750f2a, v93
	v_mul_f32_e32 v220, 0xbf6f5d39, v87
	;; [unrolled: 1-line block ×3, first 2 shown]
	v_add_f32_e32 v12, v12, v22
	v_add_f32_e32 v74, v89, v75
	;; [unrolled: 1-line block ×4, first 2 shown]
	v_fma_f32 v213, 0xbf788fa5, v78, -v219
	v_mul_f32_e32 v216, 0x3eedf032, v118
	v_fmamk_f32 v222, v142, 0xbeb58ec6, v220
	v_fmamk_f32 v223, v5, 0x3e750f2a, v221
	v_fma_f32 v173, 0xbf3f9e67, v91, -v173
	v_mul_f32_e32 v91, 0x3f62ad3f, v91
	v_add_f32_e32 v12, v14, v12
	v_mul_f32_e32 v176, 0xbf6f5d39, v5
	v_add_f32_e32 v15, v15, v74
	v_add_f32_e32 v213, v213, v172
	v_fma_f32 v225, 0x3f62ad3f, v82, -v216
	v_add_f32_e32 v172, v222, v171
	v_add_f32_e32 v171, v73, v223
	v_fmamk_f32 v222, v7, 0xbeedf032, v224
	v_mul_f32_e32 v223, 0xbf3f9e67, v133
	v_mul_f32_e32 v226, 0xbe750f2a, v81
	v_fmamk_f32 v134, v5, 0x3eedf032, v91
	v_add_f32_e32 v3, v3, v12
	v_mul_f32_e32 v186, 0x3f29c268, v7
	v_sub_f32_e32 v151, v151, v176
	v_add_f32_e32 v15, v84, v15
	v_add_f32_e32 v213, v225, v213
	v_mul_f32_e32 v225, 0xbf6f5d39, v135
	v_add_f32_e32 v171, v222, v171
	v_fmamk_f32 v222, v77, 0x3f29c268, v223
	v_mul_f32_e32 v227, 0x3f116cb1, v138
	v_fmamk_f32 v229, v0, 0xbf788fa5, v226
	v_mul_f32_e32 v230, 0x3eedf032, v85
	v_fma_f32 v207, 0x3f116cb1, v133, -v207
	v_add_f32_e32 v126, v73, v134
	v_fmamk_f32 v134, v7, 0x3f52af12, v137
	v_mul_f32_e32 v133, 0x3df6dbef, v133
	v_mul_f32_e32 v81, 0xbeedf032, v81
	v_add_f32_e32 v3, v9, v3
	v_fma_f32 v9, 0xbf788fa5, v0, -v226
	v_mul_f32_e32 v192, 0x3eedf032, v77
	v_add_f32_e32 v173, v73, v173
	v_add_f32_e32 v151, v73, v151
	v_sub_f32_e32 v159, v159, v186
	v_add_f32_e32 v15, v80, v15
	v_fma_f32 v228, 0xbeb58ec6, v86, -v225
	v_add_f32_e32 v171, v222, v171
	v_fmamk_f32 v222, v79, 0xbf52af12, v227
	v_mul_f32_e32 v231, 0xbeb58ec6, v139
	v_add_f32_e32 v229, v72, v229
	v_fmamk_f32 v232, v4, 0x3f62ad3f, v230
	v_mul_f32_e32 v233, 0xbf29c268, v90
	v_fma_f32 v211, 0xbf788fa5, v138, -v211
	v_add_f32_e32 v126, v134, v126
	v_fmamk_f32 v134, v77, 0x3f7e222b, v133
	v_mul_f32_e32 v138, 0xbeb58ec6, v138
	v_fmamk_f32 v92, v0, 0x3f62ad3f, v81
	v_mul_f32_e32 v85, 0xbf52af12, v85
	v_add_f32_e32 v3, v6, v3
	v_add_f32_e32 v6, v72, v9
	v_fma_f32 v9, 0x3f62ad3f, v4, -v230
	v_mul_f32_e32 v198, 0xbf7e222b, v79
	v_add_f32_e32 v173, v174, v173
	v_fmac_f32_e32 v210, 0xbf3f9e67, v0
	v_add_f32_e32 v151, v159, v151
	v_sub_f32_e32 v159, v164, v192
	v_add_f32_e32 v11, v11, v15
	v_fmac_f32_e32 v221, 0xbe750f2a, v5
	v_add_f32_e32 v222, v222, v171
	v_fmamk_f32 v234, v83, 0x3f6f5d39, v231
	v_add_f32_e32 v171, v228, v213
	v_add_f32_e32 v213, v232, v229
	v_mul_f32_e32 v229, 0x3f52af12, v93
	v_add_f32_e32 v125, v134, v126
	v_fmamk_f32 v126, v79, 0x3f6f5d39, v138
	v_mul_f32_e32 v134, 0xbf3f9e67, v139
	v_add_f32_e32 v88, v72, v92
	v_fmamk_f32 v92, v4, 0x3f116cb1, v85
	v_mul_f32_e32 v90, 0xbf7e222b, v90
	v_add_f32_e32 v1, v1, v3
	v_add_f32_e32 v3, v9, v6
	v_fma_f32 v6, 0xbf3f9e67, v76, -v233
	v_fmac_f32_e32 v91, 0xbeedf032, v5
	v_fma_f32 v0, 0x3f62ad3f, v0, -v81
	v_mul_f32_e32 v204, 0x3e750f2a, v83
	v_add_f32_e32 v207, v207, v173
	v_add_f32_e32 v210, v72, v210
	v_fmac_f32_e32 v214, 0x3df6dbef, v4
	v_add_f32_e32 v151, v159, v151
	v_sub_f32_e32 v159, v167, v198
	v_add_f32_e32 v10, v10, v11
	v_add_f32_e32 v11, v73, v221
	v_fmac_f32_e32 v224, 0x3eedf032, v7
	v_add_f32_e32 v222, v234, v222
	v_mul_f32_e32 v234, 0xbf6f5d39, v118
	v_add_f32_e32 v117, v126, v125
	v_fmamk_f32 v125, v83, 0x3f29c268, v134
	v_mul_f32_e32 v75, 0xbf788fa5, v142
	v_add_f32_e32 v88, v92, v88
	v_fmamk_f32 v89, v76, 0x3df6dbef, v90
	v_mul_f32_e32 v23, 0xbf6f5d39, v93
	v_add_f32_e32 v3, v6, v3
	v_add_f32_e32 v6, v73, v91
	v_fmac_f32_e32 v137, 0xbf52af12, v7
	v_fma_f32 v7, 0x3f116cb1, v78, -v229
	v_add_f32_e32 v0, v72, v0
	v_fma_f32 v4, 0x3f116cb1, v4, -v85
	v_mul_f32_e32 v197, 0x3df6dbef, v78
	v_mul_f32_e32 v218, 0x3f52af12, v87
	v_add_f32_e32 v176, v211, v207
	v_fma_f32 v207, 0x3f62ad3f, v139, -v215
	v_add_f32_e32 v210, v214, v210
	v_fmac_f32_e32 v217, 0x3f116cb1, v76
	v_add_f32_e32 v151, v159, v151
	v_sub_f32_e32 v159, v169, v204
	v_fmamk_f32 v228, v76, 0xbf3f9e67, v233
	v_add_f32_e32 v8, v8, v10
	v_add_f32_e32 v10, v224, v11
	v_fmac_f32_e32 v223, 0xbf29c268, v77
	v_add_f32_e32 v117, v125, v117
	v_fmamk_f32 v74, v87, 0x3e750f2a, v75
	v_add_f32_e32 v88, v89, v88
	v_fmamk_f32 v84, v78, 0xbeb58ec6, v23
	v_mul_f32_e32 v89, 0xbf29c268, v118
	v_add_f32_e32 v6, v137, v6
	v_fmac_f32_e32 v133, 0xbf7e222b, v77
	v_add_f32_e32 v3, v7, v3
	v_add_f32_e32 v0, v4, v0
	v_fma_f32 v4, 0x3df6dbef, v76, -v90
	v_fma_f32 v7, 0xbeb58ec6, v82, -v234
	v_mul_f32_e32 v203, 0xbf788fa5, v82
	v_add_f32_e32 v176, v207, v176
	v_add_f32_e32 v207, v217, v210
	v_fmac_f32_e32 v219, 0xbf788fa5, v78
	v_add_f32_e32 v151, v159, v151
	v_sub_f32_e32 v159, v170, v218
	v_add_f32_e32 v145, v153, v145
	v_add_f32_e32 v153, v197, v163
	v_mul_f32_e32 v232, 0x3df6dbef, v142
	v_add_f32_e32 v213, v228, v213
	v_fmamk_f32 v228, v78, 0x3f116cb1, v229
	v_add_f32_e32 v2, v2, v8
	v_add_f32_e32 v8, v223, v10
	v_fmac_f32_e32 v227, 0x3f52af12, v79
	v_add_f32_e32 v13, v74, v117
	v_add_f32_e32 v22, v84, v88
	v_fmamk_f32 v74, v82, 0xbf3f9e67, v89
	v_mul_f32_e32 v80, 0xbe750f2a, v135
	v_add_f32_e32 v6, v133, v6
	v_fmac_f32_e32 v138, 0xbf6f5d39, v79
	v_add_f32_e32 v0, v4, v0
	v_fma_f32 v4, 0xbeb58ec6, v78, -v23
	v_add_f32_e32 v3, v7, v3
	v_mul_u32_u24_e32 v7, 26, v122
	v_mul_f32_e32 v206, 0x3eedf032, v87
	v_mul_f32_e32 v212, 0x3f116cb1, v86
	v_add_f32_e32 v164, v219, v207
	v_fmac_f32_e32 v216, 0x3f62ad3f, v82
	v_add_f32_e32 v146, v159, v151
	v_add_f32_e32 v145, v153, v145
	;; [unrolled: 1-line block ×3, first 2 shown]
	v_fmamk_f32 v235, v87, 0xbf7e222b, v232
	v_add_f32_e32 v213, v228, v213
	v_fmamk_f32 v228, v82, 0xbeb58ec6, v234
	v_mul_f32_e32 v236, 0x3f7e222b, v135
	v_add_f32_e32 v5, v227, v8
	v_fmac_f32_e32 v231, 0xbf6f5d39, v83
	v_add_f32_e32 v14, v74, v22
	v_fmamk_f32 v15, v86, 0xbf788fa5, v80
	v_add_f32_e32 v6, v138, v6
	v_fmac_f32_e32 v134, 0xbf29c268, v83
	v_add_f32_e32 v0, v4, v0
	v_fma_f32 v4, 0xbf3f9e67, v82, -v89
	v_or_b32_e32 v7, v7, v121
	v_sub_f32_e32 v136, v158, v206
	v_fma_f32 v186, 0xbeb58ec6, v142, -v220
	v_add_f32_e32 v164, v216, v164
	v_fmac_f32_e32 v225, 0xbeb58ec6, v86
	v_add_f32_e32 v145, v151, v145
	v_add_f32_e32 v151, v212, v168
	;; [unrolled: 1-line block ×4, first 2 shown]
	v_fmamk_f32 v222, v86, 0x3df6dbef, v236
	v_add_f32_e32 v5, v231, v5
	v_fmac_f32_e32 v232, 0x3f7e222b, v87
	v_fma_f32 v8, 0x3df6dbef, v86, -v236
	v_add_f32_e32 v12, v15, v14
	v_add_f32_e32 v6, v134, v6
	v_fmac_f32_e32 v75, 0xbe750f2a, v87
	v_add_f32_e32 v0, v4, v0
	v_fma_f32 v9, 0xbf788fa5, v86, -v80
	v_lshlrev_b32_e32 v7, 3, v7
	v_add_f32_e32 v95, v136, v95
	v_add_f32_e32 v176, v186, v176
	;; [unrolled: 1-line block ×9, first 2 shown]
	ds_write2_b64 v7, v[1:2], v[12:13] offset1:2
	ds_write2_b64 v7, v[94:95], v[140:141] offset0:4 offset1:6
	ds_write2_b64 v7, v[145:146], v[175:176] offset0:8 offset1:10
	;; [unrolled: 1-line block ×5, first 2 shown]
	ds_write_b64 v7, v[5:6] offset:192
.LBB0_17:
	s_or_b32 exec_lo, exec_lo, s1
	v_add_nc_u32_e32 v0, 0x600, v120
	v_add_nc_u32_e32 v8, 0x1800, v120
	;; [unrolled: 1-line block ×3, first 2 shown]
	s_waitcnt lgkmcnt(0)
	s_barrier
	buffer_gl0_inv
	ds_read2_b64 v[4:7], v120 offset1:117
	ds_read2_b64 v[0:3], v0 offset0:42 offset1:198
	ds_read2_b64 v[12:15], v8 offset0:12 offset1:129
	;; [unrolled: 1-line block ×3, first 2 shown]
	ds_read_b64 v[22:23], v120 offset:8112
	s_and_saveexec_b32 s0, vcc_lo
	s_cbranch_execz .LBB0_19
; %bb.18:
	ds_read_b64 v[16:17], v120 offset:2808
	ds_read_b64 v[20:21], v120 offset:5928
	;; [unrolled: 1-line block ×3, first 2 shown]
.LBB0_19:
	s_or_b32 exec_lo, exec_lo, s0
	s_waitcnt lgkmcnt(3)
	v_mul_f32_e32 v72, v37, v3
	v_mul_f32_e32 v37, v37, v2
	s_waitcnt lgkmcnt(2)
	v_mul_f32_e32 v73, v39, v13
	v_mul_f32_e32 v39, v39, v12
	s_waitcnt lgkmcnt(0)
	v_fmac_f32_e32 v72, v36, v2
	v_fma_f32 v36, v36, v3, -v37
	v_mul_f32_e32 v3, v35, v14
	v_fmac_f32_e32 v73, v38, v12
	v_mul_f32_e32 v37, v33, v9
	v_mul_f32_e32 v2, v33, v8
	;; [unrolled: 1-line block ×4, first 2 shown]
	v_fma_f32 v15, v34, v15, -v3
	v_mul_f32_e32 v3, v29, v10
	v_fma_f32 v12, v38, v13, -v39
	v_fmac_f32_e32 v37, v32, v8
	v_fma_f32 v32, v32, v9, -v2
	v_fmac_f32_e32 v35, v28, v10
	v_mul_f32_e32 v29, v31, v23
	v_mul_f32_e32 v8, v31, v22
	v_fma_f32 v31, v28, v11, -v3
	v_mul_f32_e32 v3, v25, v20
	v_add_f32_e32 v9, v72, v73
	v_mul_f32_e32 v10, v27, v18
	v_fmac_f32_e32 v33, v34, v14
	v_fmac_f32_e32 v29, v30, v22
	v_fma_f32 v30, v30, v23, -v8
	v_fma_f32 v8, v24, v21, -v3
	v_mul_f32_e32 v3, v27, v19
	v_add_f32_e32 v11, v4, v72
	v_fma_f32 v9, -0.5, v9, v4
	v_sub_f32_e32 v14, v36, v12
	v_fma_f32 v4, v26, v19, -v10
	v_add_f32_e32 v10, v36, v12
	v_fmac_f32_e32 v3, v26, v18
	v_add_f32_e32 v18, v5, v36
	v_fmamk_f32 v13, v14, 0xbf5db3d7, v9
	v_fmac_f32_e32 v9, 0x3f5db3d7, v14
	v_add_f32_e32 v14, v37, v33
	v_fma_f32 v10, -0.5, v10, v5
	v_sub_f32_e32 v5, v72, v73
	v_mul_f32_e32 v2, v25, v21
	v_add_f32_e32 v12, v18, v12
	v_add_f32_e32 v18, v6, v37
	v_fma_f32 v6, -0.5, v14, v6
	v_sub_f32_e32 v19, v32, v15
	v_fmamk_f32 v14, v5, 0x3f5db3d7, v10
	v_fmac_f32_e32 v10, 0xbf5db3d7, v5
	v_add_f32_e32 v5, v32, v15
	v_fmac_f32_e32 v2, v24, v20
	v_add_f32_e32 v22, v18, v33
	v_fmamk_f32 v24, v19, 0xbf5db3d7, v6
	v_add_f32_e32 v18, v7, v32
	v_fmac_f32_e32 v6, 0x3f5db3d7, v19
	v_add_f32_e32 v19, v35, v29
	v_fmac_f32_e32 v7, -0.5, v5
	v_sub_f32_e32 v5, v37, v33
	v_add_f32_e32 v23, v18, v15
	v_add_f32_e32 v15, v0, v35
	v_fma_f32 v0, -0.5, v19, v0
	v_sub_f32_e32 v18, v31, v30
	v_fmamk_f32 v25, v5, 0x3f5db3d7, v7
	v_fmac_f32_e32 v7, 0xbf5db3d7, v5
	v_add_f32_e32 v5, v1, v31
	v_add_f32_e32 v26, v15, v29
	v_fmamk_f32 v28, v18, 0xbf5db3d7, v0
	v_fmac_f32_e32 v0, 0x3f5db3d7, v18
	v_add_f32_e32 v18, v2, v3
	v_add_f32_e32 v27, v5, v30
	;; [unrolled: 1-line block ×4, first 2 shown]
	v_sub_f32_e32 v21, v8, v4
	v_fma_f32 v18, -0.5, v18, v16
	v_add_f32_e32 v11, v11, v73
	v_fma_f32 v19, -0.5, v5, v17
	v_sub_f32_e32 v5, v2, v3
	v_fmac_f32_e32 v1, -0.5, v15
	v_sub_f32_e32 v15, v35, v29
	v_fmamk_f32 v20, v21, 0xbf5db3d7, v18
	v_fmac_f32_e32 v18, 0x3f5db3d7, v21
	v_fmamk_f32 v21, v5, 0x3f5db3d7, v19
	v_fmac_f32_e32 v19, 0xbf5db3d7, v5
	;; [unrolled: 2-line block ×3, first 2 shown]
	s_barrier
	buffer_gl0_inv
	ds_write2_b64 v130, v[11:12], v[13:14] offset1:26
	ds_write_b64 v130, v[9:10] offset:416
	ds_write2_b64 v129, v[22:23], v[24:25] offset1:26
	ds_write_b64 v129, v[6:7] offset:416
	;; [unrolled: 2-line block ×3, first 2 shown]
	s_and_saveexec_b32 s0, vcc_lo
	s_cbranch_execz .LBB0_21
; %bb.20:
	v_add_f32_e32 v0, v17, v8
	v_add_f32_e32 v2, v16, v2
	v_mov_b32_e32 v5, 3
	v_add_f32_e32 v1, v0, v4
	v_add_f32_e32 v0, v2, v3
	v_lshlrev_b32_sdwa v2, v5, v127 dst_sel:DWORD dst_unused:UNUSED_PAD src0_sel:DWORD src1_sel:WORD_0
	ds_write2_b64 v2, v[0:1], v[20:21] offset1:26
	ds_write_b64 v2, v[18:19] offset:416
.LBB0_21:
	s_or_b32 exec_lo, exec_lo, s0
	v_add_nc_u32_e32 v0, 0x400, v120
	v_add_nc_u32_e32 v24, 0xc00, v120
	;; [unrolled: 1-line block ×4, first 2 shown]
	s_waitcnt lgkmcnt(0)
	s_barrier
	buffer_gl0_inv
	ds_read2_b64 v[0:3], v0 offset0:106 offset1:223
	ds_read2_b64 v[4:7], v24 offset0:84 offset1:201
	;; [unrolled: 1-line block ×4, first 2 shown]
	ds_read2_b64 v[25:28], v120 offset1:117
	s_waitcnt lgkmcnt(0)
	s_barrier
	buffer_gl0_inv
	v_mul_f32_e32 v22, v51, v5
	v_mul_f32_e32 v29, v45, v9
	;; [unrolled: 1-line block ×7, first 2 shown]
	v_fmac_f32_e32 v16, v48, v0
	v_fmac_f32_e32 v22, v50, v4
	;; [unrolled: 1-line block ×3, first 2 shown]
	v_mul_f32_e32 v23, v51, v4
	v_mul_f32_e32 v30, v45, v8
	v_mul_f32_e32 v34, v53, v2
	v_mul_f32_e32 v35, v55, v7
	v_mul_f32_e32 v36, v55, v6
	v_fma_f32 v17, v48, v1, -v17
	v_fmac_f32_e32 v31, v46, v12
	v_fma_f32 v12, v46, v13, -v32
	v_fmac_f32_e32 v33, v52, v2
	v_add_f32_e32 v0, v22, v29
	v_mul_f32_e32 v1, v41, v10
	v_add_f32_e32 v2, v25, v16
	v_fma_f32 v23, v50, v5, -v23
	v_fma_f32 v30, v44, v9, -v30
	;; [unrolled: 1-line block ×3, first 2 shown]
	v_fmac_f32_e32 v35, v54, v6
	v_fma_f32 v32, v54, v7, -v36
	v_mul_f32_e32 v34, v41, v11
	v_fma_f32 v0, -0.5, v0, v25
	v_sub_f32_e32 v3, v17, v12
	v_fma_f32 v37, v40, v11, -v1
	v_add_f32_e32 v1, v2, v22
	v_sub_f32_e32 v4, v16, v22
	v_sub_f32_e32 v6, v31, v29
	v_add_f32_e32 v7, v16, v31
	v_fmac_f32_e32 v34, v40, v10
	v_fmamk_f32 v2, v3, 0xbf737871, v0
	v_sub_f32_e32 v5, v23, v30
	v_mul_f32_e32 v8, v43, v14
	v_add_f32_e32 v1, v1, v29
	v_add_f32_e32 v9, v4, v6
	v_fma_f32 v4, -0.5, v7, v25
	v_fmac_f32_e32 v0, 0x3f737871, v3
	v_add_f32_e32 v10, v26, v17
	v_fmac_f32_e32 v2, 0xbf167918, v5
	v_fma_f32 v25, v42, v15, -v8
	v_add_f32_e32 v6, v1, v31
	v_fmamk_f32 v8, v5, 0x3f737871, v4
	v_sub_f32_e32 v1, v22, v16
	v_sub_f32_e32 v7, v29, v31
	v_fmac_f32_e32 v0, 0x3f167918, v5
	v_add_f32_e32 v11, v23, v30
	v_fmac_f32_e32 v4, 0xbf737871, v5
	v_add_f32_e32 v5, v10, v23
	v_mul_f32_e32 v36, v43, v15
	v_fmac_f32_e32 v2, 0x3e9e377a, v9
	v_add_f32_e32 v7, v1, v7
	v_fma_f32 v1, -0.5, v11, v26
	v_sub_f32_e32 v10, v16, v31
	v_fmac_f32_e32 v0, 0x3e9e377a, v9
	v_add_f32_e32 v9, v5, v30
	v_add_f32_e32 v5, v17, v12
	v_fmac_f32_e32 v36, v42, v14
	v_fmac_f32_e32 v8, 0xbf167918, v3
	;; [unrolled: 1-line block ×3, first 2 shown]
	v_sub_f32_e32 v14, v17, v23
	v_sub_f32_e32 v15, v12, v30
	v_fmamk_f32 v3, v10, 0x3f737871, v1
	v_sub_f32_e32 v11, v22, v29
	v_fma_f32 v5, -0.5, v5, v26
	v_fmac_f32_e32 v1, 0xbf737871, v10
	v_fmac_f32_e32 v8, 0x3e9e377a, v7
	v_fmac_f32_e32 v4, 0x3e9e377a, v7
	v_add_f32_e32 v7, v9, v12
	v_add_f32_e32 v14, v14, v15
	v_sub_f32_e32 v15, v23, v17
	v_sub_f32_e32 v12, v30, v12
	v_add_f32_e32 v16, v35, v34
	v_fmac_f32_e32 v3, 0x3f167918, v11
	v_fmamk_f32 v9, v11, 0xbf737871, v5
	v_fmac_f32_e32 v1, 0xbf167918, v11
	v_fmac_f32_e32 v5, 0x3f737871, v11
	v_add_f32_e32 v11, v27, v33
	v_add_f32_e32 v12, v15, v12
	v_fma_f32 v16, -0.5, v16, v27
	v_sub_f32_e32 v15, v13, v25
	v_fmac_f32_e32 v3, 0x3e9e377a, v14
	v_add_f32_e32 v11, v11, v35
	v_fmac_f32_e32 v9, 0x3f167918, v10
	v_fmac_f32_e32 v1, 0x3e9e377a, v14
	v_fmac_f32_e32 v5, 0xbf167918, v10
	v_fmamk_f32 v10, v15, 0xbf737871, v16
	v_sub_f32_e32 v17, v32, v37
	v_sub_f32_e32 v14, v33, v35
	;; [unrolled: 1-line block ×3, first 2 shown]
	v_fmac_f32_e32 v16, 0x3f737871, v15
	v_add_f32_e32 v23, v33, v36
	v_add_f32_e32 v11, v11, v34
	v_fmac_f32_e32 v10, 0xbf167918, v17
	v_add_f32_e32 v14, v14, v22
	v_fmac_f32_e32 v16, 0x3f167918, v17
	v_fma_f32 v27, -0.5, v23, v27
	v_sub_f32_e32 v22, v35, v33
	v_sub_f32_e32 v23, v34, v36
	v_fmac_f32_e32 v9, 0x3e9e377a, v12
	v_fmac_f32_e32 v5, 0x3e9e377a, v12
	v_add_f32_e32 v12, v11, v36
	v_add_f32_e32 v11, v32, v37
	v_fmac_f32_e32 v10, 0x3e9e377a, v14
	v_fmac_f32_e32 v16, 0x3e9e377a, v14
	v_fmamk_f32 v14, v17, 0x3f737871, v27
	v_fmac_f32_e32 v27, 0xbf737871, v17
	v_add_f32_e32 v26, v28, v13
	v_add_f32_e32 v22, v22, v23
	;; [unrolled: 1-line block ×3, first 2 shown]
	v_fma_f32 v17, -0.5, v11, v28
	v_sub_f32_e32 v29, v33, v36
	v_fmac_f32_e32 v14, 0xbf167918, v15
	v_fmac_f32_e32 v27, 0x3f167918, v15
	v_add_f32_e32 v15, v26, v32
	v_sub_f32_e32 v26, v35, v34
	v_fmac_f32_e32 v28, -0.5, v23
	v_fmamk_f32 v11, v29, 0x3f737871, v17
	v_sub_f32_e32 v23, v13, v32
	v_sub_f32_e32 v30, v25, v37
	v_fmac_f32_e32 v14, 0x3e9e377a, v22
	v_fmac_f32_e32 v27, 0x3e9e377a, v22
	v_add_f32_e32 v22, v15, v37
	v_fmac_f32_e32 v17, 0xbf737871, v29
	v_fmamk_f32 v15, v26, 0xbf737871, v28
	v_sub_f32_e32 v13, v32, v13
	v_sub_f32_e32 v31, v37, v25
	v_fmac_f32_e32 v28, 0x3f737871, v26
	v_fmac_f32_e32 v11, 0x3f167918, v26
	v_add_f32_e32 v23, v23, v30
	v_fmac_f32_e32 v17, 0xbf167918, v26
	v_fmac_f32_e32 v15, 0x3f167918, v29
	v_add_f32_e32 v26, v13, v31
	v_fmac_f32_e32 v28, 0xbf167918, v29
	v_add_f32_e32 v13, v22, v25
	v_fmac_f32_e32 v11, 0x3e9e377a, v23
	v_fmac_f32_e32 v17, 0x3e9e377a, v23
	;; [unrolled: 1-line block ×4, first 2 shown]
	ds_write2_b64 v132, v[6:7], v[2:3] offset1:78
	ds_write2_b64 v132, v[8:9], v[4:5] offset0:156 offset1:234
	ds_write_b64 v132, v[0:1] offset:2496
	ds_write2_b64 v131, v[12:13], v[10:11] offset1:78
	ds_write2_b64 v131, v[14:15], v[27:28] offset0:156 offset1:234
	ds_write_b64 v131, v[16:17] offset:2496
	v_add_nc_u32_e32 v0, 0x600, v120
	v_add_nc_u32_e32 v8, 0x1800, v120
	s_waitcnt lgkmcnt(0)
	s_barrier
	buffer_gl0_inv
	ds_read2_b64 v[4:7], v120 offset1:117
	ds_read2_b64 v[0:3], v0 offset0:42 offset1:198
	ds_read2_b64 v[12:15], v8 offset0:12 offset1:129
	;; [unrolled: 1-line block ×3, first 2 shown]
	ds_read_b64 v[22:23], v120 offset:8112
	s_and_saveexec_b32 s0, vcc_lo
	s_cbranch_execz .LBB0_23
; %bb.22:
	ds_read_b64 v[16:17], v120 offset:2808
	ds_read_b64 v[20:21], v120 offset:5928
	;; [unrolled: 1-line block ×3, first 2 shown]
.LBB0_23:
	s_or_b32 exec_lo, exec_lo, s0
	s_waitcnt lgkmcnt(3)
	v_mul_f32_e32 v25, v69, v3
	v_mul_f32_e32 v26, v69, v2
	s_waitcnt lgkmcnt(2)
	v_mul_f32_e32 v27, v71, v13
	v_mul_f32_e32 v28, v71, v12
	s_waitcnt lgkmcnt(1)
	v_mul_f32_e32 v29, v61, v11
	v_fmac_f32_e32 v25, v68, v2
	v_fma_f32 v3, v68, v3, -v26
	v_mul_f32_e32 v26, v65, v9
	v_mul_f32_e32 v2, v65, v8
	v_fmac_f32_e32 v27, v70, v12
	v_fma_f32 v12, v70, v13, -v28
	v_mul_f32_e32 v13, v67, v15
	v_fmac_f32_e32 v26, v64, v8
	v_mul_f32_e32 v8, v67, v14
	v_fma_f32 v28, v64, v9, -v2
	v_mul_f32_e32 v2, v61, v10
	v_fmac_f32_e32 v13, v66, v14
	v_fmac_f32_e32 v29, v60, v10
	v_fma_f32 v14, v66, v15, -v8
	s_waitcnt lgkmcnt(0)
	v_mul_f32_e32 v8, v63, v22
	v_fma_f32 v30, v60, v11, -v2
	v_add_f32_e32 v2, v25, v27
	v_mul_f32_e32 v15, v63, v23
	v_add_f32_e32 v9, v4, v25
	v_fma_f32 v23, v62, v23, -v8
	v_add_f32_e32 v8, v3, v12
	v_fma_f32 v2, -0.5, v2, v4
	v_sub_f32_e32 v10, v3, v12
	v_add_f32_e32 v4, v9, v27
	v_add_f32_e32 v9, v5, v3
	v_fma_f32 v3, -0.5, v8, v5
	v_sub_f32_e32 v11, v25, v27
	v_fmamk_f32 v8, v10, 0xbf5db3d7, v2
	v_fmac_f32_e32 v2, 0x3f5db3d7, v10
	v_add_f32_e32 v10, v26, v13
	v_fmac_f32_e32 v15, v62, v22
	v_add_f32_e32 v5, v9, v12
	v_fmamk_f32 v9, v11, 0x3f5db3d7, v3
	v_add_f32_e32 v12, v6, v26
	v_fmac_f32_e32 v3, 0xbf5db3d7, v11
	v_add_f32_e32 v11, v28, v14
	v_fma_f32 v6, -0.5, v10, v6
	v_sub_f32_e32 v22, v28, v14
	v_add_f32_e32 v25, v7, v28
	v_add_f32_e32 v10, v12, v13
	v_fmac_f32_e32 v7, -0.5, v11
	v_sub_f32_e32 v26, v26, v13
	v_fmamk_f32 v12, v22, 0xbf5db3d7, v6
	v_fmac_f32_e32 v6, 0x3f5db3d7, v22
	v_add_f32_e32 v11, v25, v14
	v_add_f32_e32 v14, v29, v15
	;; [unrolled: 1-line block ×5, first 2 shown]
	v_fmamk_f32 v13, v26, 0x3f5db3d7, v7
	v_fmac_f32_e32 v7, 0xbf5db3d7, v26
	v_fma_f32 v0, -0.5, v14, v0
	v_sub_f32_e32 v26, v30, v23
	v_fmac_f32_e32 v1, -0.5, v22
	v_sub_f32_e32 v28, v29, v15
	v_add_f32_e32 v14, v25, v15
	v_add_f32_e32 v15, v27, v23
	v_fmamk_f32 v22, v26, 0xbf5db3d7, v0
	v_fmac_f32_e32 v0, 0x3f5db3d7, v26
	v_fmamk_f32 v23, v28, 0x3f5db3d7, v1
	v_fmac_f32_e32 v1, 0xbf5db3d7, v28
	ds_write_b64 v120, v[8:9] offset:3120
	ds_write_b64 v120, v[2:3] offset:6240
	ds_write2_b64 v120, v[4:5], v[10:11] offset1:117
	ds_write_b64 v120, v[6:7] offset:7176
	ds_write_b64 v120, v[14:15] offset:1872
	ds_write2_b64 v24, v[12:13], v[22:23] offset0:123 offset1:240
	ds_write_b64 v120, v[0:1] offset:8112
	s_and_saveexec_b32 s0, vcc_lo
	s_cbranch_execz .LBB0_25
; %bb.24:
	v_mul_f32_e32 v0, v57, v20
	v_mul_f32_e32 v1, v59, v18
	;; [unrolled: 1-line block ×4, first 2 shown]
	v_fma_f32 v0, v56, v21, -v0
	v_fma_f32 v3, v58, v19, -v1
	v_fmac_f32_e32 v2, v56, v20
	v_fmac_f32_e32 v4, v58, v18
	v_add_f32_e32 v7, v17, v0
	v_add_f32_e32 v1, v0, v3
	v_sub_f32_e32 v8, v0, v3
	v_add_f32_e32 v5, v2, v4
	v_sub_f32_e32 v6, v2, v4
	v_add_f32_e32 v2, v16, v2
	v_fma_f32 v1, -0.5, v1, v17
	v_add_f32_e32 v3, v7, v3
	v_fma_f32 v0, -0.5, v5, v16
	v_add_f32_e32 v2, v2, v4
	v_fmamk_f32 v5, v6, 0xbf5db3d7, v1
	v_fmac_f32_e32 v1, 0x3f5db3d7, v6
	v_fmamk_f32 v4, v8, 0x3f5db3d7, v0
	v_fmac_f32_e32 v0, 0xbf5db3d7, v8
	ds_write_b64 v120, v[2:3] offset:2808
	ds_write_b64 v120, v[0:1] offset:5928
	;; [unrolled: 1-line block ×3, first 2 shown]
.LBB0_25:
	s_or_b32 exec_lo, exec_lo, s0
	v_add_nc_u32_e32 v4, 0xc00, v120
	s_waitcnt lgkmcnt(0)
	s_barrier
	buffer_gl0_inv
	ds_read2_b64 v[0:3], v120 offset1:117
	ds_read2_b64 v[4:7], v4 offset0:84 offset1:201
	v_mad_u64_u32 v[22:23], null, s4, v119, 0
	v_mad_u64_u32 v[20:21], null, s6, v96, 0
	v_add_nc_u32_e32 v17, 0x1c00, v120
	v_add_nc_u32_e32 v8, 0x1400, v120
	;; [unrolled: 1-line block ×3, first 2 shown]
	ds_read2_b64 v[8:11], v8 offset0:62 offset1:179
	ds_read2_b64 v[12:15], v12 offset0:106 offset1:223
	v_mov_b32_e32 v16, v21
	s_mov_b32 s0, 0x1c01c01c
	s_mov_b32 s1, 0x3f4c01c0
	s_mul_i32 s3, s5, 0x1248
	s_mul_hi_u32 s6, s4, 0x1248
	v_mad_u64_u32 v[30:31], null, s7, v96, v[16:17]
	s_waitcnt lgkmcnt(3)
	v_mul_f32_e32 v18, v98, v1
	v_mul_f32_e32 v19, v98, v0
	s_waitcnt lgkmcnt(2)
	v_mul_f32_e32 v26, v116, v7
	v_mul_f32_e32 v24, v116, v6
	v_mul_f32_e32 v31, v100, v2
	v_fmac_f32_e32 v18, v97, v0
	v_fma_f32 v1, v97, v1, -v19
	v_fmac_f32_e32 v26, v115, v6
	v_fma_f32 v19, v115, v7, -v24
	v_mov_b32_e32 v0, v23
	v_cvt_f64_f32_e32 v[6:7], v18
	v_cvt_f64_f32_e32 v[24:25], v1
	;; [unrolled: 1-line block ×4, first 2 shown]
	v_mad_u64_u32 v[0:1], null, s5, v119, v[0:1]
	v_mul_f32_e32 v1, v100, v3
	v_mov_b32_e32 v21, v30
	v_fma_f32 v30, v99, v3, -v31
	ds_read2_b64 v[16:19], v17 offset0:40 offset1:157
	s_waitcnt lgkmcnt(2)
	v_mul_f32_e32 v31, v112, v9
	v_fmac_f32_e32 v1, v99, v2
	v_mov_b32_e32 v23, v0
	v_mul_f32_e32 v32, v112, v8
	s_waitcnt lgkmcnt(1)
	v_mul_f32_e32 v34, v102, v12
	v_mul_f32_e32 v35, v114, v11
	v_cvt_f64_f32_e32 v[0:1], v1
	v_mul_f32_e32 v36, v114, v10
	v_fmac_f32_e32 v31, v111, v8
	v_lshlrev_b64 v[20:21], 3, v[20:21]
	v_mul_f32_e32 v37, v110, v15
	v_fmac_f32_e32 v35, v113, v10
	v_mul_f64 v[2:3], v[6:7], s[0:1]
	v_mul_f64 v[6:7], v[24:25], s[0:1]
	;; [unrolled: 1-line block ×4, first 2 shown]
	v_cvt_f64_f32_e32 v[28:29], v30
	v_fma_f32 v30, v111, v9, -v32
	v_fma_f32 v32, v101, v13, -v34
	;; [unrolled: 1-line block ×3, first 2 shown]
	v_cvt_f64_f32_e32 v[8:9], v31
	v_mul_f32_e32 v38, v110, v14
	v_cvt_f64_f32_e32 v[10:11], v30
	v_lshlrev_b64 v[22:23], 3, v[22:23]
	v_fmac_f32_e32 v37, v109, v14
	v_add_co_u32 v14, vcc_lo, s12, v20
	v_mul_f32_e32 v33, v102, v13
	v_mul_f64 v[0:1], v[0:1], s[0:1]
	s_waitcnt lgkmcnt(0)
	v_mul_f32_e32 v39, v104, v17
	s_mul_i32 s2, s4, 0x1248
	s_add_i32 s6, s6, s3
	v_fmac_f32_e32 v33, v101, v12
	v_mul_f32_e32 v30, v106, v4
	v_cvt_f32_f64_e32 v2, v[2:3]
	v_cvt_f32_f64_e32 v3, v[6:7]
	;; [unrolled: 1-line block ×4, first 2 shown]
	v_fma_f32 v26, v109, v15, -v38
	v_add_co_ci_u32_e32 v15, vcc_lo, s13, v21, vcc_lo
	v_add_co_u32 v14, vcc_lo, v14, v22
	v_fmac_f32_e32 v39, v103, v16
	v_add_co_ci_u32_e32 v15, vcc_lo, v15, v23, vcc_lo
	v_add_co_u32 v22, vcc_lo, v14, s2
	v_cvt_f64_f32_e32 v[12:13], v33
	v_cvt_f64_f32_e32 v[20:21], v32
	v_cvt_f32_f64_e32 v0, v[0:1]
	v_mul_f32_e32 v1, v104, v16
	v_mul_f32_e32 v16, v106, v5
	;; [unrolled: 1-line block ×4, first 2 shown]
	v_add_co_ci_u32_e32 v23, vcc_lo, s6, v15, vcc_lo
	v_fma_f32 v1, v103, v17, -v1
	v_fmac_f32_e32 v16, v105, v4
	v_fma_f32 v30, v105, v5, -v30
	global_store_dwordx2 v[14:15], v[2:3], off
	global_store_dwordx2 v[22:23], v[6:7], off
	v_cvt_f64_f32_e32 v[2:3], v35
	v_cvt_f64_f32_e32 v[6:7], v34
	v_fmac_f32_e32 v31, v107, v18
	v_fma_f32 v32, v107, v19, -v32
	v_mul_f64 v[8:9], v[8:9], s[0:1]
	v_mul_f64 v[10:11], v[10:11], s[0:1]
	v_cvt_f64_f32_e32 v[14:15], v37
	v_cvt_f64_f32_e32 v[26:27], v26
	v_mul_f64 v[24:25], v[28:29], s[0:1]
	v_cvt_f64_f32_e32 v[28:29], v39
	v_cvt_f64_f32_e32 v[4:5], v1
	;; [unrolled: 1-line block ×6, first 2 shown]
	v_mul_f64 v[12:13], v[12:13], s[0:1]
	v_mul_f64 v[20:21], v[20:21], s[0:1]
	s_mul_hi_u32 s7, s4, 0xfffff160
	s_mulk_i32 s5, 0xf160
	s_sub_i32 s3, s7, s4
	s_mulk_i32 s4, 0xf160
	s_add_i32 s3, s3, s5
	v_mul_f64 v[2:3], v[2:3], s[0:1]
	v_mul_f64 v[6:7], v[6:7], s[0:1]
	v_add_co_u32 v22, vcc_lo, v22, s4
	v_cvt_f32_f64_e32 v8, v[8:9]
	v_cvt_f32_f64_e32 v9, v[10:11]
	v_mul_f64 v[10:11], v[14:15], s[0:1]
	v_mul_f64 v[14:15], v[26:27], s[0:1]
	v_cvt_f32_f64_e32 v1, v[24:25]
	v_mul_f64 v[24:25], v[28:29], s[0:1]
	v_mul_f64 v[4:5], v[4:5], s[0:1]
	;; [unrolled: 1-line block ×6, first 2 shown]
	v_add_co_ci_u32_e32 v23, vcc_lo, s3, v23, vcc_lo
	v_add_co_u32 v30, vcc_lo, v22, s2
	v_cvt_f32_f64_e32 v12, v[12:13]
	v_add_co_ci_u32_e32 v31, vcc_lo, s6, v23, vcc_lo
	v_cvt_f32_f64_e32 v13, v[20:21]
	v_add_co_u32 v20, vcc_lo, v30, s4
	v_add_co_ci_u32_e32 v21, vcc_lo, s3, v31, vcc_lo
	v_cvt_f32_f64_e32 v2, v[2:3]
	v_cvt_f32_f64_e32 v3, v[6:7]
	v_add_co_u32 v6, vcc_lo, v20, s2
	v_add_co_ci_u32_e32 v7, vcc_lo, s6, v21, vcc_lo
	v_cvt_f32_f64_e32 v10, v[10:11]
	v_cvt_f32_f64_e32 v11, v[14:15]
	;; [unrolled: 1-line block ×8, first 2 shown]
	v_add_co_u32 v18, vcc_lo, v6, s4
	v_add_co_ci_u32_e32 v19, vcc_lo, s3, v7, vcc_lo
	global_store_dwordx2 v[22:23], v[0:1], off
	v_add_co_u32 v0, vcc_lo, v18, s2
	v_add_co_ci_u32_e32 v1, vcc_lo, s6, v19, vcc_lo
	global_store_dwordx2 v[30:31], v[8:9], off
	;; [unrolled: 3-line block ×4, first 2 shown]
	global_store_dwordx2 v[18:19], v[10:11], off
	global_store_dwordx2 v[0:1], v[14:15], off
	;; [unrolled: 1-line block ×4, first 2 shown]
.LBB0_26:
	s_endpgm
	.section	.rodata,"a",@progbits
	.p2align	6, 0x0
	.amdhsa_kernel bluestein_single_fwd_len1170_dim1_sp_op_CI_CI
		.amdhsa_group_segment_fixed_size 9360
		.amdhsa_private_segment_fixed_size 0
		.amdhsa_kernarg_size 104
		.amdhsa_user_sgpr_count 6
		.amdhsa_user_sgpr_private_segment_buffer 1
		.amdhsa_user_sgpr_dispatch_ptr 0
		.amdhsa_user_sgpr_queue_ptr 0
		.amdhsa_user_sgpr_kernarg_segment_ptr 1
		.amdhsa_user_sgpr_dispatch_id 0
		.amdhsa_user_sgpr_flat_scratch_init 0
		.amdhsa_user_sgpr_private_segment_size 0
		.amdhsa_wavefront_size32 1
		.amdhsa_uses_dynamic_stack 0
		.amdhsa_system_sgpr_private_segment_wavefront_offset 0
		.amdhsa_system_sgpr_workgroup_id_x 1
		.amdhsa_system_sgpr_workgroup_id_y 0
		.amdhsa_system_sgpr_workgroup_id_z 0
		.amdhsa_system_sgpr_workgroup_info 0
		.amdhsa_system_vgpr_workitem_id 0
		.amdhsa_next_free_vgpr 237
		.amdhsa_next_free_sgpr 20
		.amdhsa_reserve_vcc 1
		.amdhsa_reserve_flat_scratch 0
		.amdhsa_float_round_mode_32 0
		.amdhsa_float_round_mode_16_64 0
		.amdhsa_float_denorm_mode_32 3
		.amdhsa_float_denorm_mode_16_64 3
		.amdhsa_dx10_clamp 1
		.amdhsa_ieee_mode 1
		.amdhsa_fp16_overflow 0
		.amdhsa_workgroup_processor_mode 1
		.amdhsa_memory_ordered 1
		.amdhsa_forward_progress 0
		.amdhsa_shared_vgpr_count 0
		.amdhsa_exception_fp_ieee_invalid_op 0
		.amdhsa_exception_fp_denorm_src 0
		.amdhsa_exception_fp_ieee_div_zero 0
		.amdhsa_exception_fp_ieee_overflow 0
		.amdhsa_exception_fp_ieee_underflow 0
		.amdhsa_exception_fp_ieee_inexact 0
		.amdhsa_exception_int_div_zero 0
	.end_amdhsa_kernel
	.text
.Lfunc_end0:
	.size	bluestein_single_fwd_len1170_dim1_sp_op_CI_CI, .Lfunc_end0-bluestein_single_fwd_len1170_dim1_sp_op_CI_CI
                                        ; -- End function
	.section	.AMDGPU.csdata,"",@progbits
; Kernel info:
; codeLenInByte = 15284
; NumSgprs: 22
; NumVgprs: 237
; ScratchSize: 0
; MemoryBound: 0
; FloatMode: 240
; IeeeMode: 1
; LDSByteSize: 9360 bytes/workgroup (compile time only)
; SGPRBlocks: 2
; VGPRBlocks: 29
; NumSGPRsForWavesPerEU: 22
; NumVGPRsForWavesPerEU: 237
; Occupancy: 4
; WaveLimiterHint : 1
; COMPUTE_PGM_RSRC2:SCRATCH_EN: 0
; COMPUTE_PGM_RSRC2:USER_SGPR: 6
; COMPUTE_PGM_RSRC2:TRAP_HANDLER: 0
; COMPUTE_PGM_RSRC2:TGID_X_EN: 1
; COMPUTE_PGM_RSRC2:TGID_Y_EN: 0
; COMPUTE_PGM_RSRC2:TGID_Z_EN: 0
; COMPUTE_PGM_RSRC2:TIDIG_COMP_CNT: 0
	.text
	.p2alignl 6, 3214868480
	.fill 48, 4, 3214868480
	.type	__hip_cuid_c4de50d4f6f7dda,@object ; @__hip_cuid_c4de50d4f6f7dda
	.section	.bss,"aw",@nobits
	.globl	__hip_cuid_c4de50d4f6f7dda
__hip_cuid_c4de50d4f6f7dda:
	.byte	0                               ; 0x0
	.size	__hip_cuid_c4de50d4f6f7dda, 1

	.ident	"AMD clang version 19.0.0git (https://github.com/RadeonOpenCompute/llvm-project roc-6.4.0 25133 c7fe45cf4b819c5991fe208aaa96edf142730f1d)"
	.section	".note.GNU-stack","",@progbits
	.addrsig
	.addrsig_sym __hip_cuid_c4de50d4f6f7dda
	.amdgpu_metadata
---
amdhsa.kernels:
  - .args:
      - .actual_access:  read_only
        .address_space:  global
        .offset:         0
        .size:           8
        .value_kind:     global_buffer
      - .actual_access:  read_only
        .address_space:  global
        .offset:         8
        .size:           8
        .value_kind:     global_buffer
      - .actual_access:  read_only
        .address_space:  global
        .offset:         16
        .size:           8
        .value_kind:     global_buffer
      - .actual_access:  read_only
        .address_space:  global
        .offset:         24
        .size:           8
        .value_kind:     global_buffer
      - .actual_access:  read_only
        .address_space:  global
        .offset:         32
        .size:           8
        .value_kind:     global_buffer
      - .offset:         40
        .size:           8
        .value_kind:     by_value
      - .address_space:  global
        .offset:         48
        .size:           8
        .value_kind:     global_buffer
      - .address_space:  global
        .offset:         56
        .size:           8
        .value_kind:     global_buffer
      - .address_space:  global
        .offset:         64
        .size:           8
        .value_kind:     global_buffer
      - .address_space:  global
        .offset:         72
        .size:           8
        .value_kind:     global_buffer
      - .offset:         80
        .size:           4
        .value_kind:     by_value
      - .address_space:  global
        .offset:         88
        .size:           8
        .value_kind:     global_buffer
      - .address_space:  global
        .offset:         96
        .size:           8
        .value_kind:     global_buffer
    .group_segment_fixed_size: 9360
    .kernarg_segment_align: 8
    .kernarg_segment_size: 104
    .language:       OpenCL C
    .language_version:
      - 2
      - 0
    .max_flat_workgroup_size: 117
    .name:           bluestein_single_fwd_len1170_dim1_sp_op_CI_CI
    .private_segment_fixed_size: 0
    .sgpr_count:     22
    .sgpr_spill_count: 0
    .symbol:         bluestein_single_fwd_len1170_dim1_sp_op_CI_CI.kd
    .uniform_work_group_size: 1
    .uses_dynamic_stack: false
    .vgpr_count:     237
    .vgpr_spill_count: 0
    .wavefront_size: 32
    .workgroup_processor_mode: 1
amdhsa.target:   amdgcn-amd-amdhsa--gfx1030
amdhsa.version:
  - 1
  - 2
...

	.end_amdgpu_metadata
